;; amdgpu-corpus repo=ROCm/rocFFT kind=compiled arch=gfx906 opt=O3
	.text
	.amdgcn_target "amdgcn-amd-amdhsa--gfx906"
	.amdhsa_code_object_version 6
	.protected	fft_rtc_fwd_len561_factors_17_3_11_wgs_255_tpt_51_halfLds_sp_ip_CI_sbrr_dirReg ; -- Begin function fft_rtc_fwd_len561_factors_17_3_11_wgs_255_tpt_51_halfLds_sp_ip_CI_sbrr_dirReg
	.globl	fft_rtc_fwd_len561_factors_17_3_11_wgs_255_tpt_51_halfLds_sp_ip_CI_sbrr_dirReg
	.p2align	8
	.type	fft_rtc_fwd_len561_factors_17_3_11_wgs_255_tpt_51_halfLds_sp_ip_CI_sbrr_dirReg,@function
fft_rtc_fwd_len561_factors_17_3_11_wgs_255_tpt_51_halfLds_sp_ip_CI_sbrr_dirReg: ; @fft_rtc_fwd_len561_factors_17_3_11_wgs_255_tpt_51_halfLds_sp_ip_CI_sbrr_dirReg
; %bb.0:
	s_load_dwordx2 s[2:3], s[4:5], 0x18
	s_load_dwordx4 s[8:11], s[4:5], 0x0
	s_load_dwordx2 s[14:15], s[4:5], 0x50
	v_mul_u32_u24_e32 v1, 0x506, v0
	v_lshrrev_b32_e32 v1, 16, v1
	s_waitcnt lgkmcnt(0)
	s_load_dwordx2 s[12:13], s[2:3], 0x0
	v_mad_u64_u32 v[3:4], s[0:1], s6, 5, v[1:2]
	v_mov_b32_e32 v5, 0
	v_cmp_lt_u64_e64 s[0:1], s[10:11], 2
	v_mov_b32_e32 v4, v5
	v_mov_b32_e32 v1, 0
	;; [unrolled: 1-line block ×3, first 2 shown]
	s_and_b64 vcc, exec, s[0:1]
	v_mov_b32_e32 v2, 0
	v_mov_b32_e32 v9, v3
	s_cbranch_vccnz .LBB0_8
; %bb.1:
	s_load_dwordx2 s[0:1], s[4:5], 0x10
	s_add_u32 s6, s2, 8
	s_addc_u32 s7, s3, 0
	v_mov_b32_e32 v1, 0
	v_mov_b32_e32 v8, v4
	s_waitcnt lgkmcnt(0)
	s_add_u32 s18, s0, 8
	s_mov_b64 s[16:17], 1
	v_mov_b32_e32 v2, 0
	s_addc_u32 s19, s1, 0
	v_mov_b32_e32 v7, v3
.LBB0_2:                                ; =>This Inner Loop Header: Depth=1
	s_load_dwordx2 s[20:21], s[18:19], 0x0
                                        ; implicit-def: $vgpr9_vgpr10
	s_waitcnt lgkmcnt(0)
	v_or_b32_e32 v6, s21, v8
	v_cmp_ne_u64_e32 vcc, 0, v[5:6]
	s_and_saveexec_b64 s[0:1], vcc
	s_xor_b64 s[22:23], exec, s[0:1]
	s_cbranch_execz .LBB0_4
; %bb.3:                                ;   in Loop: Header=BB0_2 Depth=1
	v_cvt_f32_u32_e32 v4, s20
	v_cvt_f32_u32_e32 v6, s21
	s_sub_u32 s0, 0, s20
	s_subb_u32 s1, 0, s21
	v_mac_f32_e32 v4, 0x4f800000, v6
	v_rcp_f32_e32 v4, v4
	v_mul_f32_e32 v4, 0x5f7ffffc, v4
	v_mul_f32_e32 v6, 0x2f800000, v4
	v_trunc_f32_e32 v6, v6
	v_mac_f32_e32 v4, 0xcf800000, v6
	v_cvt_u32_f32_e32 v6, v6
	v_cvt_u32_f32_e32 v4, v4
	v_mul_lo_u32 v9, s0, v6
	v_mul_hi_u32 v10, s0, v4
	v_mul_lo_u32 v12, s1, v4
	v_mul_lo_u32 v11, s0, v4
	v_add_u32_e32 v9, v10, v9
	v_add_u32_e32 v9, v9, v12
	v_mul_hi_u32 v10, v4, v11
	v_mul_lo_u32 v12, v4, v9
	v_mul_hi_u32 v14, v4, v9
	v_mul_hi_u32 v13, v6, v11
	v_mul_lo_u32 v11, v6, v11
	v_mul_hi_u32 v15, v6, v9
	v_add_co_u32_e32 v10, vcc, v10, v12
	v_addc_co_u32_e32 v12, vcc, 0, v14, vcc
	v_mul_lo_u32 v9, v6, v9
	v_add_co_u32_e32 v10, vcc, v10, v11
	v_addc_co_u32_e32 v10, vcc, v12, v13, vcc
	v_addc_co_u32_e32 v11, vcc, 0, v15, vcc
	v_add_co_u32_e32 v9, vcc, v10, v9
	v_addc_co_u32_e32 v10, vcc, 0, v11, vcc
	v_add_co_u32_e32 v4, vcc, v4, v9
	v_addc_co_u32_e32 v6, vcc, v6, v10, vcc
	v_mul_lo_u32 v9, s0, v6
	v_mul_hi_u32 v10, s0, v4
	v_mul_lo_u32 v11, s1, v4
	v_mul_lo_u32 v12, s0, v4
	v_add_u32_e32 v9, v10, v9
	v_add_u32_e32 v9, v9, v11
	v_mul_lo_u32 v13, v4, v9
	v_mul_hi_u32 v14, v4, v12
	v_mul_hi_u32 v15, v4, v9
	;; [unrolled: 1-line block ×3, first 2 shown]
	v_mul_lo_u32 v12, v6, v12
	v_mul_hi_u32 v10, v6, v9
	v_add_co_u32_e32 v13, vcc, v14, v13
	v_addc_co_u32_e32 v14, vcc, 0, v15, vcc
	v_mul_lo_u32 v9, v6, v9
	v_add_co_u32_e32 v12, vcc, v13, v12
	v_addc_co_u32_e32 v11, vcc, v14, v11, vcc
	v_addc_co_u32_e32 v10, vcc, 0, v10, vcc
	v_add_co_u32_e32 v9, vcc, v11, v9
	v_addc_co_u32_e32 v10, vcc, 0, v10, vcc
	v_add_co_u32_e32 v4, vcc, v4, v9
	v_addc_co_u32_e32 v6, vcc, v6, v10, vcc
	v_mad_u64_u32 v[9:10], s[0:1], v7, v6, 0
	v_mul_hi_u32 v11, v7, v4
	v_add_co_u32_e32 v13, vcc, v11, v9
	v_addc_co_u32_e32 v14, vcc, 0, v10, vcc
	v_mad_u64_u32 v[9:10], s[0:1], v8, v4, 0
	v_mad_u64_u32 v[11:12], s[0:1], v8, v6, 0
	v_add_co_u32_e32 v4, vcc, v13, v9
	v_addc_co_u32_e32 v4, vcc, v14, v10, vcc
	v_addc_co_u32_e32 v6, vcc, 0, v12, vcc
	v_add_co_u32_e32 v4, vcc, v4, v11
	v_addc_co_u32_e32 v6, vcc, 0, v6, vcc
	v_mul_lo_u32 v11, s21, v4
	v_mul_lo_u32 v12, s20, v6
	v_mad_u64_u32 v[9:10], s[0:1], s20, v4, 0
	v_add3_u32 v10, v10, v12, v11
	v_sub_u32_e32 v11, v8, v10
	v_mov_b32_e32 v12, s21
	v_sub_co_u32_e32 v9, vcc, v7, v9
	v_subb_co_u32_e64 v11, s[0:1], v11, v12, vcc
	v_subrev_co_u32_e64 v12, s[0:1], s20, v9
	v_subbrev_co_u32_e64 v11, s[0:1], 0, v11, s[0:1]
	v_cmp_le_u32_e64 s[0:1], s21, v11
	v_cndmask_b32_e64 v13, 0, -1, s[0:1]
	v_cmp_le_u32_e64 s[0:1], s20, v12
	v_cndmask_b32_e64 v12, 0, -1, s[0:1]
	v_cmp_eq_u32_e64 s[0:1], s21, v11
	v_cndmask_b32_e64 v11, v13, v12, s[0:1]
	v_add_co_u32_e64 v12, s[0:1], 2, v4
	v_addc_co_u32_e64 v13, s[0:1], 0, v6, s[0:1]
	v_add_co_u32_e64 v14, s[0:1], 1, v4
	v_addc_co_u32_e64 v15, s[0:1], 0, v6, s[0:1]
	v_subb_co_u32_e32 v10, vcc, v8, v10, vcc
	v_cmp_ne_u32_e64 s[0:1], 0, v11
	v_cmp_le_u32_e32 vcc, s21, v10
	v_cndmask_b32_e64 v11, v15, v13, s[0:1]
	v_cndmask_b32_e64 v13, 0, -1, vcc
	v_cmp_le_u32_e32 vcc, s20, v9
	v_cndmask_b32_e64 v9, 0, -1, vcc
	v_cmp_eq_u32_e32 vcc, s21, v10
	v_cndmask_b32_e32 v9, v13, v9, vcc
	v_cmp_ne_u32_e32 vcc, 0, v9
	v_cndmask_b32_e32 v10, v6, v11, vcc
	v_cndmask_b32_e64 v6, v14, v12, s[0:1]
	v_cndmask_b32_e32 v9, v4, v6, vcc
.LBB0_4:                                ;   in Loop: Header=BB0_2 Depth=1
	s_andn2_saveexec_b64 s[0:1], s[22:23]
	s_cbranch_execz .LBB0_6
; %bb.5:                                ;   in Loop: Header=BB0_2 Depth=1
	v_cvt_f32_u32_e32 v4, s20
	s_sub_i32 s22, 0, s20
	v_rcp_iflag_f32_e32 v4, v4
	v_mul_f32_e32 v4, 0x4f7ffffe, v4
	v_cvt_u32_f32_e32 v4, v4
	v_mul_lo_u32 v6, s22, v4
	v_mul_hi_u32 v6, v4, v6
	v_add_u32_e32 v4, v4, v6
	v_mul_hi_u32 v4, v7, v4
	v_mul_lo_u32 v6, v4, s20
	v_add_u32_e32 v9, 1, v4
	v_sub_u32_e32 v6, v7, v6
	v_subrev_u32_e32 v10, s20, v6
	v_cmp_le_u32_e32 vcc, s20, v6
	v_cndmask_b32_e32 v6, v6, v10, vcc
	v_cndmask_b32_e32 v4, v4, v9, vcc
	v_add_u32_e32 v9, 1, v4
	v_cmp_le_u32_e32 vcc, s20, v6
	v_cndmask_b32_e32 v9, v4, v9, vcc
	v_mov_b32_e32 v10, v5
.LBB0_6:                                ;   in Loop: Header=BB0_2 Depth=1
	s_or_b64 exec, exec, s[0:1]
	v_mul_lo_u32 v4, v10, s20
	v_mul_lo_u32 v6, v9, s21
	v_mad_u64_u32 v[11:12], s[0:1], v9, s20, 0
	s_load_dwordx2 s[0:1], s[6:7], 0x0
	s_add_u32 s16, s16, 1
	v_add3_u32 v4, v12, v6, v4
	v_sub_co_u32_e32 v6, vcc, v7, v11
	v_subb_co_u32_e32 v4, vcc, v8, v4, vcc
	s_waitcnt lgkmcnt(0)
	v_mul_lo_u32 v4, s0, v4
	v_mul_lo_u32 v7, s1, v6
	v_mad_u64_u32 v[1:2], s[0:1], s0, v6, v[1:2]
	s_addc_u32 s17, s17, 0
	s_add_u32 s6, s6, 8
	v_add3_u32 v2, v7, v2, v4
	v_mov_b32_e32 v6, s10
	v_mov_b32_e32 v7, s11
	s_addc_u32 s7, s7, 0
	v_cmp_ge_u64_e32 vcc, s[16:17], v[6:7]
	s_add_u32 s18, s18, 8
	s_addc_u32 s19, s19, 0
	s_cbranch_vccnz .LBB0_8
; %bb.7:                                ;   in Loop: Header=BB0_2 Depth=1
	v_mov_b32_e32 v7, v9
	v_mov_b32_e32 v8, v10
	s_branch .LBB0_2
.LBB0_8:
	s_lshl_b64 s[0:1], s[10:11], 3
	s_add_u32 s0, s2, s0
	s_addc_u32 s1, s3, s1
	s_load_dwordx2 s[2:3], s[0:1], 0x0
	s_load_dwordx2 s[6:7], s[4:5], 0x20
                                        ; implicit-def: $vgpr36
                                        ; implicit-def: $vgpr38
                                        ; implicit-def: $vgpr34
                                        ; implicit-def: $vgpr32
                                        ; implicit-def: $vgpr30
                                        ; implicit-def: $vgpr28
                                        ; implicit-def: $vgpr26
                                        ; implicit-def: $vgpr24
                                        ; implicit-def: $vgpr22
                                        ; implicit-def: $vgpr20
                                        ; implicit-def: $vgpr8
                                        ; implicit-def: $vgpr12
                                        ; implicit-def: $vgpr14
                                        ; implicit-def: $vgpr16
                                        ; implicit-def: $vgpr18
	s_waitcnt lgkmcnt(0)
	v_mad_u64_u32 v[1:2], s[0:1], s2, v9, v[1:2]
	s_mov_b32 s0, 0x5050506
	v_mul_lo_u32 v4, s2, v10
	v_mul_lo_u32 v5, s3, v9
	v_mul_hi_u32 v6, v0, s0
	v_cmp_gt_u64_e32 vcc, s[6:7], v[9:10]
                                        ; implicit-def: $vgpr10
	v_add3_u32 v2, v5, v2, v4
	v_mul_u32_u24_e32 v4, 51, v6
	v_sub_u32_e32 v49, v0, v4
	v_mov_b32_e32 v6, 0
	v_mov_b32_e32 v0, 0
	;; [unrolled: 1-line block ×3, first 2 shown]
	s_and_saveexec_b64 s[2:3], vcc
	s_cbranch_execz .LBB0_12
; %bb.9:
	v_cmp_gt_u32_e64 s[0:1], 33, v49
	v_mov_b32_e32 v5, 0
	v_mov_b32_e32 v6, 0
                                        ; implicit-def: $vgpr17
                                        ; implicit-def: $vgpr15
                                        ; implicit-def: $vgpr13
                                        ; implicit-def: $vgpr11
                                        ; implicit-def: $vgpr7
                                        ; implicit-def: $vgpr9
                                        ; implicit-def: $vgpr19
                                        ; implicit-def: $vgpr21
                                        ; implicit-def: $vgpr23
                                        ; implicit-def: $vgpr25
                                        ; implicit-def: $vgpr27
                                        ; implicit-def: $vgpr29
                                        ; implicit-def: $vgpr31
                                        ; implicit-def: $vgpr33
                                        ; implicit-def: $vgpr37
                                        ; implicit-def: $vgpr35
	s_and_saveexec_b64 s[4:5], s[0:1]
	s_cbranch_execz .LBB0_11
; %bb.10:
	v_mad_u64_u32 v[4:5], s[0:1], s12, v49, 0
	v_add_u32_e32 v10, 33, v49
	v_mad_u64_u32 v[8:9], s[0:1], s12, v10, 0
	v_mov_b32_e32 v0, v5
	v_mad_u64_u32 v[5:6], s[0:1], s13, v49, v[0:1]
	v_lshlrev_b64 v[6:7], 3, v[1:2]
	v_mov_b32_e32 v0, s15
	v_add_co_u32_e64 v12, s[0:1], s14, v6
	v_addc_co_u32_e64 v13, s[0:1], v0, v7, s[0:1]
	v_mov_b32_e32 v0, v9
	v_mad_u64_u32 v[6:7], s[0:1], s13, v10, v[0:1]
	v_add_u32_e32 v7, 0x42, v49
	v_mad_u64_u32 v[10:11], s[0:1], s12, v7, 0
	v_lshlrev_b64 v[4:5], 3, v[4:5]
	v_mov_b32_e32 v9, v6
	v_add_co_u32_e64 v19, s[0:1], v12, v4
	v_mov_b32_e32 v0, v11
	v_addc_co_u32_e64 v20, s[0:1], v13, v5, s[0:1]
	v_lshlrev_b64 v[4:5], 3, v[8:9]
	v_mad_u64_u32 v[6:7], s[0:1], s13, v7, v[0:1]
	v_add_u32_e32 v9, 0x63, v49
	v_mad_u64_u32 v[7:8], s[0:1], s12, v9, 0
	v_add_co_u32_e64 v21, s[0:1], v12, v4
	v_mov_b32_e32 v0, v8
	v_addc_co_u32_e64 v22, s[0:1], v13, v5, s[0:1]
	v_mov_b32_e32 v11, v6
	v_mad_u64_u32 v[8:9], s[0:1], s13, v9, v[0:1]
	v_add_u32_e32 v6, 0x84, v49
	v_lshlrev_b64 v[4:5], 3, v[10:11]
	v_mad_u64_u32 v[9:10], s[0:1], s12, v6, 0
	v_add_co_u32_e64 v39, s[0:1], v12, v4
	v_mov_b32_e32 v0, v10
	v_addc_co_u32_e64 v40, s[0:1], v13, v5, s[0:1]
	v_lshlrev_b64 v[4:5], 3, v[7:8]
	v_mad_u64_u32 v[6:7], s[0:1], s13, v6, v[0:1]
	v_add_u32_e32 v11, 0xa5, v49
	v_mad_u64_u32 v[7:8], s[0:1], s12, v11, 0
	v_add_co_u32_e64 v41, s[0:1], v12, v4
	v_mov_b32_e32 v10, v6
	v_mov_b32_e32 v0, v8
	v_addc_co_u32_e64 v42, s[0:1], v13, v5, s[0:1]
	v_lshlrev_b64 v[4:5], 3, v[9:10]
	v_mad_u64_u32 v[8:9], s[0:1], s13, v11, v[0:1]
	v_add_u32_e32 v6, 0xc6, v49
	v_mad_u64_u32 v[9:10], s[0:1], s12, v6, 0
	v_add_co_u32_e64 v43, s[0:1], v12, v4
	v_mov_b32_e32 v0, v10
	v_addc_co_u32_e64 v44, s[0:1], v13, v5, s[0:1]
	v_lshlrev_b64 v[4:5], 3, v[7:8]
	v_mad_u64_u32 v[6:7], s[0:1], s13, v6, v[0:1]
	v_add_u32_e32 v11, 0xe7, v49
	v_mad_u64_u32 v[7:8], s[0:1], s12, v11, 0
	v_add_co_u32_e64 v45, s[0:1], v12, v4
	v_mov_b32_e32 v10, v6
	v_mov_b32_e32 v0, v8
	v_addc_co_u32_e64 v46, s[0:1], v13, v5, s[0:1]
	v_lshlrev_b64 v[4:5], 3, v[9:10]
	v_mad_u64_u32 v[8:9], s[0:1], s13, v11, v[0:1]
	v_add_u32_e32 v6, 0x108, v49
	;; [unrolled: 15-line block ×6, first 2 shown]
	v_mad_u64_u32 v[9:10], s[0:1], s12, v6, 0
	v_add_co_u32_e64 v64, s[0:1], v12, v4
	v_mov_b32_e32 v0, v10
	v_addc_co_u32_e64 v65, s[0:1], v13, v5, s[0:1]
	v_lshlrev_b64 v[4:5], 3, v[7:8]
	v_mad_u64_u32 v[6:7], s[0:1], s13, v6, v[0:1]
	v_add_co_u32_e64 v66, s[0:1], v12, v4
	v_mov_b32_e32 v10, v6
	v_addc_co_u32_e64 v67, s[0:1], v13, v5, s[0:1]
	v_lshlrev_b64 v[4:5], 3, v[9:10]
	v_add_co_u32_e64 v68, s[0:1], v12, v4
	v_addc_co_u32_e64 v69, s[0:1], v13, v5, s[0:1]
	global_load_dwordx2 v[5:6], v[19:20], off
	global_load_dwordx2 v[35:36], v[21:22], off
	;; [unrolled: 1-line block ×15, first 2 shown]
                                        ; kill: killed $vgpr39 killed $vgpr40
                                        ; kill: killed $vgpr64 killed $vgpr65
                                        ; kill: killed $vgpr54 killed $vgpr55
                                        ; kill: killed $vgpr43 killed $vgpr44
                                        ; kill: killed $vgpr58 killed $vgpr59
                                        ; kill: killed $vgpr47 killed $vgpr48
                                        ; kill: killed $vgpr21 killed $vgpr22
                                        ; kill: killed $vgpr62 killed $vgpr63
                                        ; kill: killed $vgpr52 killed $vgpr53
                                        ; kill: killed $vgpr41 killed $vgpr42
                                        ; kill: killed $vgpr56 killed $vgpr57
                                        ; kill: killed $vgpr45 killed $vgpr46
                                        ; kill: killed $vgpr19 killed $vgpr20
                                        ; kill: killed $vgpr60 killed $vgpr61
                                        ; kill: killed $vgpr50 killed $vgpr51
	global_load_dwordx2 v[19:20], v[66:67], off
	global_load_dwordx2 v[21:22], v[68:69], off
.LBB0_11:
	s_or_b64 exec, exec, s[4:5]
	v_mov_b32_e32 v0, v49
.LBB0_12:
	s_or_b64 exec, exec, s[2:3]
	s_mov_b32 s0, 0xcccccccd
	v_mul_hi_u32 v4, v3, s0
	s_waitcnt vmcnt(0)
	v_add_f32_e32 v39, v35, v21
	v_mul_f32_e32 v58, 0xbf59a7d5, v39
	v_add_f32_e32 v40, v37, v19
	v_lshrrev_b32_e32 v4, 2, v4
	v_lshl_add_u32 v4, v4, 2, v4
	v_sub_f32_e32 v41, v36, v22
	v_sub_u32_e32 v50, v3, v4
	v_mov_b32_e32 v3, v58
	v_mul_f32_e32 v59, 0x3ee437d1, v40
	v_fmac_f32_e32 v3, 0xbf06c442, v41
	v_sub_f32_e32 v43, v38, v20
	v_mov_b32_e32 v4, v59
	v_add_f32_e32 v3, v5, v3
	v_fmac_f32_e32 v4, 0x3f65296c, v43
	v_mul_f32_e32 v63, 0xbf7ba420, v39
	v_add_f32_e32 v3, v3, v4
	v_mov_b32_e32 v4, v63
	v_mul_f32_e32 v64, 0x3f6eb680, v40
	v_fmac_f32_e32 v4, 0xbe3c28d5, v41
	v_mov_b32_e32 v42, v64
	v_add_f32_e32 v4, v5, v4
	v_fmac_f32_e32 v42, 0x3eb8f4ab, v43
	v_add_f32_e32 v4, v4, v42
	v_add_f32_e32 v42, v33, v9
	v_mul_f32_e32 v60, 0x3dbcf732, v42
	v_sub_f32_e32 v46, v34, v10
	v_mov_b32_e32 v44, v60
	v_fmac_f32_e32 v44, 0xbf7ee86f, v46
	v_mul_f32_e32 v66, 0xbf59a7d5, v42
	v_add_f32_e32 v3, v3, v44
	v_mov_b32_e32 v44, v66
	v_fmac_f32_e32 v44, 0xbf06c442, v46
	v_add_f32_e32 v4, v4, v44
	v_add_f32_e32 v44, v31, v7
	v_mul_f32_e32 v61, 0xbf1a4643, v44
	v_sub_f32_e32 v48, v32, v8
	v_mov_b32_e32 v45, v61
	v_fmac_f32_e32 v45, 0x3f4c4adb, v48
	v_mul_f32_e32 v68, 0x3f3d2fb0, v44
	v_add_f32_e32 v3, v3, v45
	v_mov_b32_e32 v45, v68
	;; [unrolled: 10-line block ×4, first 2 shown]
	v_add_f32_e32 v52, v25, v15
	v_fmac_f32_e32 v51, 0x3f65296c, v54
	v_mul_f32_e32 v67, 0x3f3d2fb0, v52
	v_add_f32_e32 v4, v4, v51
	v_sub_f32_e32 v56, v26, v16
	v_mov_b32_e32 v51, v67
	v_fmac_f32_e32 v51, 0x3f2c7751, v56
	v_mul_f32_e32 v80, 0xbe8c1d8e, v52
	v_add_f32_e32 v3, v3, v51
	v_mov_b32_e32 v51, v80
	v_add_f32_e32 v55, v23, v17
	v_fmac_f32_e32 v51, 0xbf763a35, v56
	v_mul_f32_e32 v69, 0xbe8c1d8e, v55
	v_add_f32_e32 v51, v4, v51
	v_sub_f32_e32 v57, v24, v18
	v_mov_b32_e32 v4, v69
	v_fmac_f32_e32 v4, 0xbf763a35, v57
	v_mul_f32_e32 v81, 0x3dbcf732, v55
	v_add_f32_e32 v4, v3, v4
	v_mov_b32_e32 v3, v81
	v_fmac_f32_e32 v3, 0x3f7ee86f, v57
	v_mul_f32_e32 v71, 0xbf1a4643, v39
	v_add_f32_e32 v3, v51, v3
	v_mov_b32_e32 v51, v71
	v_mul_f32_e32 v72, 0xbe8c1d8e, v40
	v_fmac_f32_e32 v51, 0xbf4c4adb, v41
	v_mov_b32_e32 v73, v72
	v_add_f32_e32 v51, v5, v51
	v_fmac_f32_e32 v73, 0x3f763a35, v43
	v_add_f32_e32 v51, v51, v73
	v_mul_f32_e32 v73, 0x3f6eb680, v42
	v_mov_b32_e32 v75, v73
	v_fmac_f32_e32 v75, 0xbeb8f4ab, v46
	v_add_f32_e32 v51, v51, v75
	v_mul_f32_e32 v75, 0xbf59a7d5, v44
	v_mov_b32_e32 v76, v75
	;; [unrolled: 4-line block ×6, first 2 shown]
	v_fmac_f32_e32 v82, 0x3f65296c, v57
	v_mul_u32_u24_e32 v50, 0x231, v50
	v_add_f32_e32 v51, v51, v82
	s_mov_b32 s6, 0xbf1a4643
	s_mov_b32 s5, 0xbf59a7d5
	;; [unrolled: 1-line block ×8, first 2 shown]
	v_cmp_gt_u32_e64 s[2:3], 33, v49
	v_lshlrev_b32_e32 v50, 2, v50
	s_and_saveexec_b64 s[0:1], s[2:3]
	s_cbranch_execz .LBB0_14
; %bb.13:
	v_mul_f32_e32 v82, 0xbe3c28d5, v41
	v_sub_f32_e32 v63, v63, v82
	v_mul_f32_e32 v82, 0x3eb8f4ab, v43
	v_sub_f32_e32 v64, v64, v82
	v_add_f32_e32 v63, v5, v63
	v_add_f32_e32 v63, v63, v64
	v_mul_f32_e32 v64, 0xbf06c442, v46
	v_sub_f32_e32 v64, v66, v64
	v_add_f32_e32 v63, v63, v64
	v_mul_f32_e32 v64, 0x3f2c7751, v48
	v_sub_f32_e32 v64, v68, v64
	;; [unrolled: 3-line block ×4, first 2 shown]
	v_add_f32_e32 v63, v63, v64
	v_mul_f32_e32 v64, 0xbf763a35, v56
	v_mul_f32_e32 v66, 0xbf06c442, v41
	v_sub_f32_e32 v64, v80, v64
	v_mul_f32_e32 v70, 0x3f65296c, v43
	v_add_f32_e32 v63, v63, v64
	v_mul_f32_e32 v64, 0x3f7ee86f, v57
	v_sub_f32_e32 v58, v58, v66
	v_mul_f32_e32 v80, 0xbf7ee86f, v46
	v_sub_f32_e32 v64, v81, v64
	v_sub_f32_e32 v59, v59, v70
	v_add_f32_e32 v58, v5, v58
	v_add_f32_e32 v63, v63, v64
	v_mul_f32_e32 v64, 0x3f4c4adb, v48
	v_add_f32_e32 v58, v58, v59
	v_sub_f32_e32 v60, v60, v80
	v_mul_f32_e32 v70, 0xbeb8f4ab, v53
	v_add_f32_e32 v58, v58, v60
	v_sub_f32_e32 v61, v61, v64
	;; [unrolled: 3-line block ×13, first 2 shown]
	v_add_f32_e32 v59, v59, v60
	v_sub_f32_e32 v60, v79, v61
	v_add_f32_e32 v59, v59, v60
	v_mul_f32_e32 v60, 0xbf763a35, v41
	v_mov_b32_e32 v61, v60
	v_mul_f32_e32 v62, 0x3f06c442, v43
	v_fmac_f32_e32 v61, 0xbe8c1d8e, v39
	v_mov_b32_e32 v64, v62
	v_add_f32_e32 v61, v5, v61
	v_fmac_f32_e32 v64, 0xbf59a7d5, v40
	v_add_f32_e32 v61, v61, v64
	v_mul_f32_e32 v64, 0x3f2c7751, v46
	v_mov_b32_e32 v65, v64
	v_fmac_f32_e32 v65, 0x3f3d2fb0, v42
	v_add_f32_e32 v61, v61, v65
	v_mul_f32_e32 v65, 0xbf65296c, v48
	v_mov_b32_e32 v66, v65
	;; [unrolled: 4-line block ×3, first 2 shown]
	v_fmac_f32_e32 v67, 0xbf7ba420, v45
	v_add_f32_e32 v61, v61, v67
	v_mul_f32_e32 v67, 0x3f7ee86f, v54
	v_fma_f32 v60, v39, s7, -v60
	v_mov_b32_e32 v68, v67
	v_add_f32_e32 v60, v5, v60
	v_fma_f32 v62, v40, s5, -v62
	v_fmac_f32_e32 v68, 0x3dbcf732, v47
	v_add_f32_e32 v60, v60, v62
	v_fma_f32 v62, v42, s17, -v64
	v_add_f32_e32 v61, v61, v68
	v_mul_f32_e32 v68, 0xbeb8f4ab, v56
	v_add_f32_e32 v60, v60, v62
	v_fma_f32 v62, v44, s10, -v65
	v_mov_b32_e32 v69, v68
	v_add_f32_e32 v60, v60, v62
	v_fma_f32 v62, v45, s4, -v66
	v_fmac_f32_e32 v69, 0x3f6eb680, v52
	v_add_f32_e32 v60, v60, v62
	v_fma_f32 v62, v47, s11, -v67
	v_add_f32_e32 v61, v61, v69
	v_mul_f32_e32 v69, 0xbf4c4adb, v57
	v_add_f32_e32 v60, v60, v62
	v_fma_f32 v62, v52, s16, -v68
	v_add_f32_e32 v60, v60, v62
	v_fma_f32 v62, v55, s6, -v69
	v_add_f32_e32 v60, v60, v62
	v_mul_f32_e32 v62, 0xbf7ee86f, v41
	v_mov_b32_e32 v64, v62
	v_mul_f32_e32 v65, 0xbe3c28d5, v43
	v_fmac_f32_e32 v64, 0x3dbcf732, v39
	v_mov_b32_e32 v66, v65
	v_add_f32_e32 v64, v5, v64
	v_fmac_f32_e32 v66, 0xbf7ba420, v40
	v_add_f32_e32 v64, v64, v66
	v_mul_f32_e32 v66, 0x3f763a35, v46
	v_mov_b32_e32 v67, v66
	v_fmac_f32_e32 v67, 0xbe8c1d8e, v42
	v_add_f32_e32 v64, v64, v67
	v_mul_f32_e32 v67, 0x3eb8f4ab, v48
	v_mov_b32_e32 v68, v67
	v_fmac_f32_e32 v68, 0x3f6eb680, v44
	v_add_f32_e32 v64, v64, v68
	v_mul_f32_e32 v68, 0xbf65296c, v53
	v_mov_b32_e32 v70, v69
	v_mov_b32_e32 v69, v68
	v_fmac_f32_e32 v69, 0x3ee437d1, v45
	v_fmac_f32_e32 v70, 0xbf1a4643, v55
	v_add_f32_e32 v64, v64, v69
	v_mul_f32_e32 v69, 0xbf06c442, v54
	v_fma_f32 v62, v39, s11, -v62
	v_add_f32_e32 v61, v61, v70
	v_mov_b32_e32 v70, v69
	v_add_f32_e32 v62, v5, v62
	v_fma_f32 v65, v40, s4, -v65
	v_fmac_f32_e32 v70, 0xbf59a7d5, v47
	v_add_f32_e32 v62, v62, v65
	v_fma_f32 v65, v42, s7, -v66
	v_add_f32_e32 v64, v64, v70
	v_mul_f32_e32 v70, 0x3f4c4adb, v56
	v_add_f32_e32 v62, v62, v65
	v_fma_f32 v65, v44, s16, -v67
	v_mov_b32_e32 v71, v70
	v_add_f32_e32 v62, v62, v65
	v_fma_f32 v65, v45, s10, -v68
	v_fmac_f32_e32 v71, 0xbf1a4643, v52
	v_add_f32_e32 v62, v62, v65
	v_fma_f32 v65, v47, s5, -v69
	v_add_f32_e32 v64, v64, v71
	v_mul_f32_e32 v71, 0x3f2c7751, v57
	v_add_f32_e32 v62, v62, v65
	v_fma_f32 v65, v52, s6, -v70
	v_add_f32_e32 v62, v62, v65
	v_fma_f32 v65, v55, s17, -v71
	v_add_f32_e32 v62, v62, v65
	v_mul_f32_e32 v65, 0xbf65296c, v41
	v_mov_b32_e32 v66, v65
	v_mul_f32_e32 v67, 0xbf4c4adb, v43
	v_fmac_f32_e32 v66, 0x3ee437d1, v39
	v_mov_b32_e32 v68, v67
	v_add_f32_e32 v66, v5, v66
	v_fmac_f32_e32 v68, 0xbf1a4643, v40
	v_add_f32_e32 v66, v66, v68
	v_mul_f32_e32 v68, 0x3e3c28d5, v46
	v_mov_b32_e32 v69, v68
	v_fmac_f32_e32 v69, 0xbf7ba420, v42
	v_add_f32_e32 v66, v66, v69
	v_mul_f32_e32 v69, 0x3f763a35, v48
	v_mov_b32_e32 v70, v69
	v_fmac_f32_e32 v70, 0xbe8c1d8e, v44
	v_add_f32_e32 v66, v66, v70
	v_mul_f32_e32 v70, 0x3f2c7751, v53
	v_mov_b32_e32 v72, v71
	v_mov_b32_e32 v71, v70
	v_fmac_f32_e32 v71, 0x3f3d2fb0, v45
	v_fmac_f32_e32 v72, 0x3f3d2fb0, v55
	v_add_f32_e32 v66, v66, v71
	v_mul_f32_e32 v71, 0xbeb8f4ab, v54
	v_fma_f32 v65, v39, s10, -v65
	v_add_f32_e32 v64, v64, v72
	;; [unrolled: 48-line block ×3, first 2 shown]
	v_mov_b32_e32 v74, v73
	v_add_f32_e32 v67, v5, v67
	v_fma_f32 v69, v40, s11, -v69
	v_fmac_f32_e32 v74, 0xbe8c1d8e, v47
	v_add_f32_e32 v67, v67, v69
	v_fma_f32 v69, v42, s6, -v70
	v_add_f32_e32 v68, v68, v74
	v_mul_f32_e32 v74, 0x3f65296c, v56
	v_add_f32_e32 v67, v67, v69
	v_fma_f32 v69, v44, s4, -v71
	v_mov_b32_e32 v75, v74
	v_add_f32_e32 v67, v67, v69
	v_fma_f32 v69, v45, s5, -v72
	v_fmac_f32_e32 v75, 0x3ee437d1, v52
	v_add_f32_e32 v67, v67, v69
	v_fma_f32 v69, v47, s7, -v73
	v_add_f32_e32 v68, v68, v75
	v_mul_f32_e32 v75, 0x3eb8f4ab, v57
	v_add_f32_e32 v67, v67, v69
	v_fma_f32 v69, v52, s10, -v74
	v_add_f32_e32 v67, v67, v69
	v_fma_f32 v69, v55, s16, -v75
	v_mul_f32_e32 v41, 0xbeb8f4ab, v41
	v_add_f32_e32 v67, v67, v69
	v_mov_b32_e32 v69, v41
	v_fmac_f32_e32 v69, 0x3f6eb680, v39
	v_fma_f32 v39, v39, s16, -v41
	v_add_f32_e32 v69, v5, v69
	v_add_f32_e32 v39, v5, v39
	;; [unrolled: 1-line block ×3, first 2 shown]
	v_mul_f32_e32 v43, 0xbf2c7751, v43
	v_add_f32_e32 v5, v5, v37
	v_mov_b32_e32 v70, v43
	v_add_f32_e32 v5, v5, v33
	v_fmac_f32_e32 v70, 0x3f3d2fb0, v40
	v_mul_f32_e32 v46, 0xbf65296c, v46
	v_add_f32_e32 v5, v5, v31
	v_add_f32_e32 v69, v69, v70
	v_mov_b32_e32 v70, v46
	v_add_f32_e32 v5, v5, v29
	v_fmac_f32_e32 v70, 0x3ee437d1, v42
	v_mul_f32_e32 v48, 0xbf7ee86f, v48
	v_add_f32_e32 v5, v5, v27
	v_add_f32_e32 v69, v69, v70
	v_mov_b32_e32 v70, v48
	v_add_f32_e32 v5, v5, v25
	v_fmac_f32_e32 v70, 0x3dbcf732, v44
	v_mul_f32_e32 v53, 0xbf763a35, v53
	v_fma_f32 v40, v40, s17, -v43
	v_add_f32_e32 v5, v5, v23
	v_add_f32_e32 v69, v69, v70
	v_mov_b32_e32 v70, v53
	v_add_f32_e32 v39, v39, v40
	v_fma_f32 v40, v42, s10, -v46
	v_add_f32_e32 v5, v5, v17
	v_fmac_f32_e32 v70, 0xbe8c1d8e, v45
	v_mul_f32_e32 v54, 0xbf4c4adb, v54
	v_add_f32_e32 v39, v39, v40
	v_fma_f32 v40, v44, s11, -v48
	v_add_f32_e32 v5, v15, v5
	v_add_f32_e32 v69, v69, v70
	v_mov_b32_e32 v70, v54
	v_add_f32_e32 v39, v39, v40
	v_fma_f32 v40, v45, s7, -v53
	v_add_f32_e32 v5, v13, v5
	v_fmac_f32_e32 v70, 0xbf1a4643, v47
	v_mul_f32_e32 v56, 0xbf06c442, v56
	v_add_f32_e32 v39, v39, v40
	v_fma_f32 v40, v47, s6, -v54
	v_add_f32_e32 v5, v11, v5
	v_add_f32_e32 v69, v69, v70
	v_mov_b32_e32 v70, v56
	v_mul_f32_e32 v57, 0xbe3c28d5, v57
	v_add_f32_e32 v39, v39, v40
	v_fma_f32 v40, v52, s5, -v56
	v_add_f32_e32 v5, v7, v5
	v_fmac_f32_e32 v70, 0xbf59a7d5, v52
	v_add_f32_e32 v39, v39, v40
	v_fma_f32 v40, v55, s4, -v57
	v_add_f32_e32 v5, v9, v5
	v_mov_b32_e32 v76, v75
	v_add_f32_e32 v69, v69, v70
	v_mov_b32_e32 v70, v57
	v_add_f32_e32 v39, v39, v40
	v_add_f32_e32 v5, v19, v5
	v_mul_u32_u24_e32 v40, 0x44, v49
	v_fmac_f32_e32 v76, 0x3f6eb680, v55
	v_fmac_f32_e32 v70, 0xbf7ba420, v55
	v_add_f32_e32 v5, v21, v5
	v_add3_u32 v40, 0, v40, v50
	v_add_f32_e32 v68, v68, v76
	v_add_f32_e32 v69, v69, v70
	ds_write2_b32 v40, v5, v39 offset1:1
	ds_write2_b32 v40, v67, v65 offset0:2 offset1:3
	ds_write2_b32 v40, v62, v60 offset0:4 offset1:5
	;; [unrolled: 1-line block ×7, first 2 shown]
	ds_write_b32 v40, v69 offset:64
.LBB0_14:
	s_or_b64 exec, exec, s[0:1]
	v_lshlrev_b32_e32 v5, 2, v49
	v_add3_u32 v53, 0, v50, v5
	v_add_u32_e32 v5, 0, v5
	v_add_u32_e32 v52, v5, v50
	;; [unrolled: 1-line block ×3, first 2 shown]
	s_waitcnt lgkmcnt(0)
	s_barrier
	ds_read_b32 v54, v53
	ds_read2_b32 v[47:48], v52 offset0:187 offset1:238
	ds_read2_b32 v[43:44], v41 offset0:33 offset1:118
	;; [unrolled: 1-line block ×4, first 2 shown]
	v_cmp_gt_u32_e64 s[0:1], 34, v49
	s_and_saveexec_b64 s[4:5], s[0:1]
	s_cbranch_execz .LBB0_16
; %bb.15:
	v_add_u32_e32 v3, 0x200, v52
	ds_read2_b32 v[3:4], v3 offset0:25 offset1:212
	ds_read_b32 v51, v52 offset:2108
.LBB0_16:
	s_or_b64 exec, exec, s[4:5]
	v_sub_f32_e32 v80, v35, v21
	v_add_f32_e32 v79, v36, v22
	v_mul_f32_e32 v78, 0xbf4c4adb, v80
	v_sub_f32_e32 v75, v37, v19
	v_fma_f32 v21, v79, s6, -v78
	s_mov_b32 s7, 0xbf59a7d5
	v_mul_f32_e32 v76, 0xbf06c442, v80
	v_add_f32_e32 v72, v38, v20
	s_mov_b32 s19, 0xbe8c1d8e
	v_mul_f32_e32 v71, 0x3f763a35, v75
	v_sub_f32_e32 v70, v33, v9
	v_add_f32_e32 v21, v6, v21
	v_fma_f32 v35, v79, s7, -v76
	s_mov_b32 s10, 0xbf7ba420
	v_mul_f32_e32 v77, 0xbe3c28d5, v80
	v_fma_f32 v19, v72, s19, -v71
	s_mov_b32 s17, 0x3ee437d1
	v_mul_f32_e32 v73, 0x3f65296c, v75
	s_mov_b32 s11, 0x3f6eb680
	v_add_f32_e32 v66, v34, v10
	v_mul_f32_e32 v67, 0xbeb8f4ab, v70
	v_sub_f32_e32 v65, v31, v7
	v_add_f32_e32 v35, v6, v35
	v_fma_f32 v41, v79, s10, -v77
	v_add_f32_e32 v19, v21, v19
	v_fma_f32 v21, v72, s17, -v73
	v_mul_f32_e32 v74, 0x3eb8f4ab, v75
	v_fma_f32 v9, v66, s11, -v67
	s_mov_b32 s18, 0x3dbcf732
	v_mul_f32_e32 v68, 0xbf7ee86f, v70
	v_add_f32_e32 v61, v32, v8
	v_mul_f32_e32 v62, 0xbf06c442, v65
	v_sub_f32_e32 v60, v29, v11
	v_add_f32_e32 v41, v6, v41
	v_add_f32_e32 v21, v35, v21
	v_fma_f32 v35, v72, s11, -v74
	v_add_f32_e32 v9, v19, v9
	v_fma_f32 v19, v66, s18, -v68
	v_mul_f32_e32 v69, 0xbf06c442, v70
	v_fma_f32 v7, v61, s7, -v62
	v_mul_f32_e32 v63, 0x3f4c4adb, v65
	v_add_f32_e32 v56, v30, v12
	v_mul_f32_e32 v57, 0x3f7ee86f, v60
	v_sub_f32_e32 v55, v27, v13
	v_add_f32_e32 v35, v41, v35
	v_add_f32_e32 v19, v21, v19
	v_fma_f32 v21, v66, s7, -v69
	v_add_f32_e32 v7, v9, v7
	v_fma_f32 v9, v61, s6, -v63
	s_mov_b32 s16, 0x3f3d2fb0
	v_mul_f32_e32 v64, 0x3f2c7751, v65
	v_fma_f32 v11, v56, s18, -v57
	v_mul_f32_e32 v58, 0xbeb8f4ab, v60
	v_add_f32_e32 v31, v28, v14
	v_mul_f32_e32 v33, 0xbf2c7751, v55
	v_add_f32_e32 v21, v35, v21
	v_add_f32_e32 v9, v19, v9
	v_fma_f32 v19, v61, s16, -v64
	v_add_f32_e32 v7, v7, v11
	v_fma_f32 v11, v56, s11, -v58
	v_mul_f32_e32 v59, 0xbf4c4adb, v60
	v_fma_f32 v13, v31, s16, -v33
	v_mul_f32_e32 v35, 0xbe3c28d5, v55
	v_add_f32_e32 v19, v21, v19
	v_add_f32_e32 v9, v9, v11
	v_fma_f32 v11, v56, s6, -v59
	v_add_f32_e32 v7, v7, v13
	v_fma_f32 v13, v31, s10, -v35
	v_mul_f32_e32 v37, 0x3f65296c, v55
	v_sub_f32_e32 v29, v25, v15
	v_add_f32_e32 v11, v19, v11
	v_add_f32_e32 v9, v9, v13
	v_fma_f32 v13, v31, s17, -v37
	v_add_f32_e32 v19, v26, v16
	v_mul_f32_e32 v21, 0xbe3c28d5, v29
	v_add_f32_e32 v11, v11, v13
	v_fma_f32 v13, v19, s10, -v21
	v_mul_f32_e32 v25, 0x3f2c7751, v29
	v_add_f32_e32 v13, v7, v13
	v_fma_f32 v7, v19, s16, -v25
	;; [unrolled: 3-line block ×3, first 2 shown]
	v_sub_f32_e32 v17, v23, v17
	v_add_f32_e32 v41, v11, v7
	v_add_f32_e32 v7, v24, v18
	v_mul_f32_e32 v9, 0x3f65296c, v17
	v_fma_f32 v11, v7, s17, -v9
	v_add_f32_e32 v13, v13, v11
	v_mul_f32_e32 v11, 0xbf763a35, v17
	v_fma_f32 v23, v7, s19, -v11
	;; [unrolled: 3-line block ×3, first 2 shown]
	v_add_f32_e32 v41, v41, v23
	s_waitcnt lgkmcnt(0)
	s_barrier
	s_and_saveexec_b64 s[4:5], s[2:3]
	s_cbranch_execz .LBB0_18
; %bb.17:
	v_add_f32_e32 v23, v6, v36
	v_add_f32_e32 v23, v23, v38
	;; [unrolled: 1-line block ×13, first 2 shown]
	v_mul_f32_e32 v30, 0xbf1a4643, v79
	v_add_f32_e32 v8, v10, v8
	v_mul_f32_e32 v32, 0xbf59a7d5, v79
	v_mul_f32_e32 v34, 0xbe8c1d8e, v72
	v_add_f32_e32 v8, v20, v8
	v_mul_f32_e32 v10, 0xbeb8f4ab, v80
	v_mul_f32_e32 v20, 0xbf2c7751, v80
	v_mul_f32_e32 v84, 0xbf65296c, v80
	v_mul_f32_e32 v86, 0xbf7ee86f, v80
	v_mul_f32_e32 v80, 0xbf763a35, v80
	v_add_f32_e32 v30, v30, v78
	v_mul_f32_e32 v28, 0xbf7ba420, v79
	v_mul_f32_e32 v26, 0x3ee437d1, v72
	;; [unrolled: 1-line block ×3, first 2 shown]
	v_mov_b32_e32 v88, v80
	v_add_f32_e32 v32, v32, v76
	v_add_f32_e32 v30, v6, v30
	;; [unrolled: 1-line block ×3, first 2 shown]
	v_mul_f32_e32 v36, 0x3f6eb680, v72
	v_mul_f32_e32 v38, 0x3dbcf732, v66
	v_add_f32_e32 v8, v22, v8
	v_fma_f32 v12, v79, s11, -v10
	v_fmac_f32_e32 v10, 0x3f6eb680, v79
	v_fma_f32 v22, v79, s16, -v20
	v_fmac_f32_e32 v20, 0x3f3d2fb0, v79
	;; [unrolled: 2-line block ×4, first 2 shown]
	v_fmac_f32_e32 v88, 0xbe8c1d8e, v79
	v_fma_f32 v79, v79, s19, -v80
	v_add_f32_e32 v28, v28, v77
	v_add_f32_e32 v32, v6, v32
	;; [unrolled: 1-line block ×5, first 2 shown]
	v_mul_f32_e32 v23, 0xbf59a7d5, v66
	v_mul_f32_e32 v18, 0xbf1a4643, v61
	v_add_f32_e32 v10, v6, v10
	v_add_f32_e32 v12, v6, v12
	;; [unrolled: 1-line block ×11, first 2 shown]
	v_mul_f32_e32 v28, 0xbf2c7751, v75
	v_add_f32_e32 v26, v32, v26
	v_add_f32_e32 v32, v36, v74
	;; [unrolled: 1-line block ×4, first 2 shown]
	v_mul_f32_e32 v81, 0xbf59a7d5, v61
	v_mul_f32_e32 v82, 0x3f3d2fb0, v61
	v_fma_f32 v89, v72, s16, -v28
	v_fmac_f32_e32 v28, 0x3f3d2fb0, v72
	v_add_f32_e32 v6, v6, v32
	v_mul_f32_e32 v32, 0xbf65296c, v70
	v_add_f32_e32 v26, v26, v30
	v_add_f32_e32 v23, v23, v69
	;; [unrolled: 1-line block ×3, first 2 shown]
	v_mul_f32_e32 v16, 0x3dbcf732, v56
	v_mul_f32_e32 v14, 0xbf1a4643, v56
	v_add_f32_e32 v10, v10, v28
	v_mul_f32_e32 v28, 0xbf7ee86f, v75
	v_fma_f32 v34, v66, s17, -v32
	v_fmac_f32_e32 v32, 0x3ee437d1, v66
	v_add_f32_e32 v6, v6, v23
	v_mul_f32_e32 v23, 0xbf7ee86f, v65
	v_add_f32_e32 v38, v81, v62
	v_add_f32_e32 v18, v26, v18
	;; [unrolled: 1-line block ×3, first 2 shown]
	v_mul_f32_e32 v83, 0x3f6eb680, v56
	v_add_f32_e32 v12, v12, v89
	v_fma_f32 v89, v72, s18, -v28
	v_fmac_f32_e32 v28, 0x3dbcf732, v72
	v_add_f32_e32 v10, v10, v32
	v_mul_f32_e32 v32, 0xbf4c4adb, v70
	v_fma_f32 v30, v61, s18, -v23
	v_fmac_f32_e32 v23, 0x3dbcf732, v61
	v_add_f32_e32 v24, v24, v38
	v_add_f32_e32 v6, v6, v26
	v_mul_f32_e32 v26, 0xbf763a35, v60
	v_add_f32_e32 v16, v16, v57
	v_add_f32_e32 v14, v14, v59
	;; [unrolled: 1-line block ×4, first 2 shown]
	v_mul_f32_e32 v28, 0xbf4c4adb, v75
	v_add_f32_e32 v12, v12, v34
	v_fma_f32 v34, v66, s6, -v32
	v_fmac_f32_e32 v32, 0xbf1a4643, v66
	v_add_f32_e32 v10, v10, v23
	v_mul_f32_e32 v23, 0xbe3c28d5, v65
	v_fma_f32 v38, v56, s19, -v26
	v_fmac_f32_e32 v26, 0xbe8c1d8e, v56
	v_add_f32_e32 v16, v24, v16
	v_add_f32_e32 v24, v83, v58
	;; [unrolled: 1-line block ×3, first 2 shown]
	v_mul_f32_e32 v14, 0xbf4c4adb, v55
	v_fma_f32 v89, v72, s6, -v28
	v_fmac_f32_e32 v28, 0xbf1a4643, v72
	v_add_f32_e32 v20, v20, v32
	v_add_f32_e32 v22, v22, v34
	v_mul_f32_e32 v32, 0x3e3c28d5, v70
	v_add_f32_e32 v12, v12, v30
	v_fma_f32 v30, v61, s10, -v23
	v_fmac_f32_e32 v23, 0xbf7ba420, v61
	v_add_f32_e32 v10, v10, v26
	v_mul_f32_e32 v26, 0x3f06c442, v60
	v_add_f32_e32 v18, v18, v24
	v_fma_f32 v24, v31, s6, -v14
	v_fmac_f32_e32 v14, 0xbf1a4643, v31
	v_add_f32_e32 v28, v84, v28
	v_add_f32_e32 v84, v85, v89
	v_mul_f32_e32 v85, 0xbe3c28d5, v75
	v_fma_f32 v34, v66, s10, -v32
	v_fmac_f32_e32 v32, 0xbf7ba420, v66
	v_add_f32_e32 v20, v20, v23
	v_add_f32_e32 v22, v22, v30
	v_mul_f32_e32 v23, 0x3f763a35, v65
	v_add_f32_e32 v12, v12, v38
	v_fma_f32 v38, v56, s7, -v26
	v_fmac_f32_e32 v26, 0xbf59a7d5, v56
	v_add_f32_e32 v10, v10, v14
	v_mul_f32_e32 v14, 0x3f763a35, v55
	v_fma_f32 v89, v72, s10, -v85
	v_fmac_f32_e32 v85, 0xbf7ba420, v72
	v_add_f32_e32 v28, v28, v32
	v_add_f32_e32 v32, v84, v34
	v_mul_f32_e32 v34, 0x3f763a35, v70
	v_fma_f32 v30, v61, s19, -v23
	v_fmac_f32_e32 v23, 0xbe8c1d8e, v61
	v_add_f32_e32 v20, v20, v26
	v_add_f32_e32 v22, v22, v38
	v_mul_f32_e32 v26, 0x3f2c7751, v60
	v_add_f32_e32 v12, v12, v24
	v_fma_f32 v24, v31, s19, -v14
	v_fmac_f32_e32 v14, 0xbe8c1d8e, v31
	v_add_f32_e32 v85, v86, v85
	v_fma_f32 v36, v66, s19, -v34
	v_fmac_f32_e32 v34, 0xbe8c1d8e, v66
	v_add_f32_e32 v23, v28, v23
	v_add_f32_e32 v28, v32, v30
	v_mul_f32_e32 v30, 0x3eb8f4ab, v65
	v_fma_f32 v38, v56, s16, -v26
	v_fmac_f32_e32 v26, 0x3f3d2fb0, v56
	v_add_f32_e32 v14, v20, v14
	v_add_f32_e32 v20, v22, v24
	v_mul_f32_e32 v22, 0xbeb8f4ab, v55
	v_add_f32_e32 v87, v87, v89
	v_add_f32_e32 v34, v85, v34
	v_fma_f32 v32, v61, s11, -v30
	v_fmac_f32_e32 v30, 0x3f6eb680, v61
	v_add_f32_e32 v23, v23, v26
	v_add_f32_e32 v26, v28, v38
	v_mul_f32_e32 v28, 0xbf65296c, v60
	v_fma_f32 v24, v31, s11, -v22
	v_fmac_f32_e32 v22, 0x3f6eb680, v31
	v_add_f32_e32 v36, v87, v36
	v_add_f32_e32 v30, v34, v30
	v_fma_f32 v38, v56, s17, -v28
	v_fmac_f32_e32 v28, 0x3ee437d1, v56
	v_add_f32_e32 v22, v23, v22
	v_add_f32_e32 v23, v26, v24
	v_mul_f32_e32 v24, 0xbf06c442, v55
	v_mul_f32_e32 v75, 0x3f06c442, v75
	v_add_f32_e32 v32, v36, v32
	v_add_f32_e32 v28, v30, v28
	v_fma_f32 v26, v31, s7, -v24
	v_fmac_f32_e32 v24, 0xbf59a7d5, v31
	v_mov_b32_e32 v89, v75
	v_mul_f32_e32 v70, 0x3f2c7751, v70
	v_add_f32_e32 v30, v32, v38
	v_add_f32_e32 v24, v28, v24
	v_mul_f32_e32 v28, 0x3f7ee86f, v55
	v_mul_f32_e32 v80, 0x3f3d2fb0, v31
	v_fmac_f32_e32 v89, 0xbf59a7d5, v72
	v_fma_f32 v72, v72, s7, -v75
	v_mov_b32_e32 v73, v70
	v_add_f32_e32 v26, v30, v26
	v_mov_b32_e32 v30, v28
	v_mul_f32_e32 v78, 0xbf7ba420, v31
	v_mul_f32_e32 v76, 0x3ee437d1, v31
	;; [unrolled: 1-line block ×3, first 2 shown]
	v_add_f32_e32 v72, v79, v72
	v_fmac_f32_e32 v73, 0x3f3d2fb0, v66
	v_fma_f32 v66, v66, s16, -v70
	v_mul_f32_e32 v34, 0xbf65296c, v65
	v_fmac_f32_e32 v30, 0x3dbcf732, v31
	v_fma_f32 v28, v31, s18, -v28
	v_add_f32_e32 v31, v80, v33
	v_mul_f32_e32 v86, 0x3f3d2fb0, v19
	v_add_f32_e32 v66, v72, v66
	v_mov_b32_e32 v36, v34
	v_fma_f32 v34, v61, s17, -v34
	v_mul_f32_e32 v32, 0xbe3c28d5, v60
	v_add_f32_e32 v16, v16, v31
	v_add_f32_e32 v31, v78, v35
	;; [unrolled: 1-line block ×4, first 2 shown]
	v_mul_f32_e32 v89, 0xbe8c1d8e, v19
	v_add_f32_e32 v34, v66, v34
	v_mov_b32_e32 v38, v32
	v_fma_f32 v32, v56, s10, -v32
	v_add_f32_e32 v18, v18, v31
	v_add_f32_e32 v31, v76, v37
	;; [unrolled: 1-line block ×6, first 2 shown]
	v_mul_f32_e32 v31, 0xbf06c442, v29
	v_add_f32_e32 v18, v18, v21
	v_add_f32_e32 v21, v89, v27
	;; [unrolled: 1-line block ×3, first 2 shown]
	v_fma_f32 v32, v19, s7, -v31
	v_fmac_f32_e32 v31, 0xbf59a7d5, v19
	v_add_f32_e32 v6, v6, v21
	v_mul_f32_e32 v21, 0xbe3c28d5, v17
	v_add_f32_e32 v10, v10, v31
	v_mul_f32_e32 v31, 0x3f65296c, v29
	v_fma_f32 v25, v7, s10, -v21
	v_fmac_f32_e32 v21, 0xbf7ba420, v7
	v_add_f32_e32 v12, v12, v32
	v_fma_f32 v32, v19, s17, -v31
	v_fmac_f32_e32 v31, 0x3ee437d1, v19
	v_add_f32_e32 v10, v10, v21
	v_mul_f32_e32 v21, 0x3eb8f4ab, v17
	v_add_f32_e32 v14, v14, v31
	v_mul_f32_e32 v31, 0xbf7ee86f, v29
	v_add_f32_e32 v12, v12, v25
	v_fma_f32 v25, v7, s11, -v21
	v_fmac_f32_e32 v21, 0x3f6eb680, v7
	v_add_f32_e32 v20, v20, v32
	v_fma_f32 v32, v19, s18, -v31
	v_fmac_f32_e32 v31, 0x3dbcf732, v19
	v_add_f32_e32 v14, v14, v21
	v_mul_f32_e32 v21, 0xbf06c442, v17
	v_add_f32_e32 v73, v88, v73
	v_fmac_f32_e32 v36, 0x3ee437d1, v61
	v_add_f32_e32 v22, v22, v31
	v_add_f32_e32 v23, v23, v32
	v_mul_f32_e32 v31, 0x3f4c4adb, v29
	v_add_f32_e32 v20, v20, v25
	v_fma_f32 v25, v7, s7, -v21
	v_fmac_f32_e32 v21, 0xbf59a7d5, v7
	v_mul_f32_e32 v71, 0x3dbcf732, v7
	v_add_f32_e32 v36, v73, v36
	v_fmac_f32_e32 v38, 0xbf7ba420, v56
	v_fma_f32 v32, v19, s6, -v31
	v_fmac_f32_e32 v31, 0xbf1a4643, v19
	v_mul_f32_e32 v29, 0xbeb8f4ab, v29
	v_add_f32_e32 v21, v22, v21
	v_add_f32_e32 v22, v23, v25
	v_mul_f32_e32 v23, 0x3f2c7751, v17
	v_add_f32_e32 v36, v36, v38
	v_add_f32_e32 v24, v24, v31
	;; [unrolled: 1-line block ×3, first 2 shown]
	v_mov_b32_e32 v31, v29
	v_fma_f32 v25, v7, s16, -v23
	v_fmac_f32_e32 v23, 0x3f3d2fb0, v7
	v_mul_f32_e32 v17, 0xbf4c4adb, v17
	v_add_f32_e32 v15, v71, v15
	v_mul_f32_e32 v75, 0x3ee437d1, v7
	v_mul_f32_e32 v79, 0xbe8c1d8e, v7
	v_add_f32_e32 v30, v36, v30
	v_fmac_f32_e32 v31, 0x3f6eb680, v19
	v_fma_f32 v19, v19, s11, -v29
	v_add_f32_e32 v23, v24, v23
	v_add_f32_e32 v24, v26, v25
	v_mov_b32_e32 v25, v17
	v_add_f32_e32 v6, v6, v15
	v_lshlrev_b32_e32 v15, 6, v49
	v_add_f32_e32 v30, v30, v31
	v_add_f32_e32 v19, v28, v19
	v_fmac_f32_e32 v25, 0xbf1a4643, v7
	v_fma_f32 v7, v7, s6, -v17
	v_add_f32_e32 v9, v75, v9
	v_add_f32_e32 v11, v79, v11
	v_add3_u32 v5, v5, v15, v50
	v_add_f32_e32 v25, v30, v25
	v_add_f32_e32 v7, v19, v7
	;; [unrolled: 1-line block ×4, first 2 shown]
	ds_write2_b32 v5, v8, v10 offset1:1
	ds_write2_b32 v5, v14, v21 offset0:2 offset1:3
	ds_write2_b32 v5, v23, v25 offset0:4 offset1:5
	;; [unrolled: 1-line block ×7, first 2 shown]
	ds_write_b32 v5, v12 offset:64
.LBB0_18:
	s_or_b64 exec, exec, s[4:5]
	v_add_u32_e32 v9, 0x400, v52
	s_waitcnt lgkmcnt(0)
	s_barrier
	ds_read_b32 v15, v53
	ds_read2_b32 v[11:12], v52 offset0:187 offset1:238
	ds_read2_b32 v[7:8], v9 offset0:33 offset1:118
	;; [unrolled: 1-line block ×4, first 2 shown]
	s_and_saveexec_b64 s[2:3], s[0:1]
	s_cbranch_execz .LBB0_20
; %bb.19:
	v_add_u32_e32 v13, 0x200, v52
	ds_read2_b32 v[41:42], v13 offset0:25 offset1:212
	ds_read_b32 v13, v52 offset:2108
.LBB0_20:
	s_or_b64 exec, exec, s[2:3]
	s_movk_i32 s2, 0xf1
	v_mul_lo_u16_sdwa v14, v49, s2 dst_sel:DWORD dst_unused:UNUSED_PAD src0_sel:BYTE_0 src1_sel:DWORD
	v_add_u16_e32 v17, 51, v49
	v_lshrrev_b16_e32 v14, 12, v14
	v_mul_lo_u16_sdwa v20, v17, s2 dst_sel:DWORD dst_unused:UNUSED_PAD src0_sel:BYTE_0 src1_sel:DWORD
	v_mul_lo_u16_e32 v16, 17, v14
	v_lshrrev_b16_e32 v37, 12, v20
	v_sub_u16_e32 v18, v49, v16
	v_mov_b32_e32 v19, 4
	v_mul_lo_u16_e32 v20, 17, v37
	v_lshlrev_b32_sdwa v16, v19, v18 dst_sel:DWORD dst_unused:UNUSED_PAD src0_sel:DWORD src1_sel:BYTE_0
	v_sub_u16_e32 v38, v17, v20
	v_lshlrev_b32_sdwa v17, v19, v38 dst_sel:DWORD dst_unused:UNUSED_PAD src0_sel:DWORD src1_sel:BYTE_0
	global_load_dwordx4 v[29:32], v16, s[8:9]
	global_load_dwordx4 v[33:36], v17, s[8:9]
	v_add_u16_e32 v16, 0x66, v49
	v_mul_lo_u16_sdwa v17, v16, s2 dst_sel:DWORD dst_unused:UNUSED_PAD src0_sel:BYTE_0 src1_sel:DWORD
	v_lshrrev_b16_e32 v63, 12, v17
	v_mul_lo_u16_e32 v17, 17, v63
	v_add_u16_e32 v20, 0x99, v49
	v_sub_u16_e32 v64, v16, v17
	v_mul_lo_u16_sdwa v16, v20, s2 dst_sel:DWORD dst_unused:UNUSED_PAD src0_sel:BYTE_0 src1_sel:DWORD
	v_lshlrev_b32_sdwa v17, v19, v64 dst_sel:DWORD dst_unused:UNUSED_PAD src0_sel:DWORD src1_sel:BYTE_0
	v_lshrrev_b16_e32 v16, 12, v16
	global_load_dwordx4 v[55:58], v17, s[8:9]
	v_mul_lo_u16_e32 v17, 17, v16
	v_sub_u16_e32 v17, v20, v17
	v_lshlrev_b32_sdwa v19, v19, v17 dst_sel:DWORD dst_unused:UNUSED_PAD src0_sel:DWORD src1_sel:BYTE_0
	global_load_dwordx4 v[59:62], v19, s[8:9]
	s_movk_i32 s4, 0xcc
	v_mov_b32_e32 v26, 2
	v_mad_u32_u24 v65, v14, s4, 0
	v_lshlrev_b32_sdwa v66, v26, v18 dst_sel:DWORD dst_unused:UNUSED_PAD src0_sel:DWORD src1_sel:BYTE_0
	s_waitcnt vmcnt(0) lgkmcnt(0)
	s_barrier
	v_mul_f32_e32 v20, v11, v30
	v_mul_f32_e32 v21, v8, v32
	;; [unrolled: 1-line block ×8, first 2 shown]
	v_fma_f32 v28, v47, v29, -v20
	v_fma_f32 v30, v44, v31, -v21
	v_fmac_f32_e32 v27, v8, v31
	v_mul_f32_e32 v36, v7, v56
	v_mul_f32_e32 v14, v43, v56
	;; [unrolled: 1-line block ×5, first 2 shown]
	v_fmac_f32_e32 v24, v9, v35
	v_fma_f32 v8, v43, v55, -v36
	v_add_f32_e32 v9, v28, v30
	v_mul_f32_e32 v18, v4, v60
	v_mul_f32_e32 v19, v51, v62
	v_fmac_f32_e32 v25, v11, v29
	v_fma_f32 v11, v48, v33, -v32
	v_fmac_f32_e32 v23, v12, v33
	v_fma_f32 v12, v45, v35, -v34
	;; [unrolled: 2-line block ×3, first 2 shown]
	v_fma_f32 v20, v4, v59, -v58
	v_add_f32_e32 v4, v54, v28
	v_add_f32_e32 v32, v40, v8
	v_fmac_f32_e32 v54, -0.5, v9
	v_mul_f32_e32 v60, v13, v62
	v_fmac_f32_e32 v22, v10, v57
	v_fmac_f32_e32 v19, v13, v61
	v_sub_f32_e32 v10, v25, v27
	v_add_f32_e32 v13, v39, v11
	v_add_f32_e32 v29, v11, v12
	;; [unrolled: 1-line block ×3, first 2 shown]
	v_mov_b32_e32 v32, v54
	v_add_f32_e32 v33, v8, v7
	v_add_f32_e32 v4, v4, v30
	;; [unrolled: 1-line block ×3, first 2 shown]
	v_fma_f32 v13, -0.5, v29, v39
	v_fmac_f32_e32 v32, 0x3f5db3d7, v10
	v_add3_u32 v29, v65, v66, v50
	v_sub_f32_e32 v31, v23, v24
	v_fmac_f32_e32 v40, -0.5, v33
	v_fmac_f32_e32 v54, 0xbf5db3d7, v10
	v_mov_b32_e32 v33, v13
	ds_write2_b32 v29, v4, v32 offset1:17
	ds_write_b32 v29, v54 offset:136
	v_mad_u32_u24 v4, v37, s4, 0
	v_lshlrev_b32_sdwa v10, v26, v38 dst_sel:DWORD dst_unused:UNUSED_PAD src0_sel:DWORD src1_sel:BYTE_0
	v_fmac_f32_e32 v13, 0xbf5db3d7, v31
	v_fmac_f32_e32 v33, 0x3f5db3d7, v31
	v_add3_u32 v31, v4, v10, v50
	v_sub_f32_e32 v34, v14, v22
	v_mov_b32_e32 v36, v40
	ds_write2_b32 v31, v9, v33 offset1:17
	ds_write_b32 v31, v13 offset:136
	v_mad_u32_u24 v4, v63, s4, 0
	v_lshlrev_b32_sdwa v9, v26, v64 dst_sel:DWORD dst_unused:UNUSED_PAD src0_sel:DWORD src1_sel:BYTE_0
	v_fmac_f32_e32 v18, v42, v59
	v_fma_f32 v21, v51, v61, -v60
	v_fmac_f32_e32 v36, 0x3f5db3d7, v34
	v_add3_u32 v32, v4, v9, v50
	v_fmac_f32_e32 v40, 0xbf5db3d7, v34
	ds_write2_b32 v32, v35, v36 offset1:17
	ds_write_b32 v32, v40 offset:136
	s_and_saveexec_b64 s[2:3], s[0:1]
	s_cbranch_execz .LBB0_22
; %bb.21:
	v_add_f32_e32 v4, v20, v21
	v_fma_f32 v4, -0.5, v4, v3
	v_sub_f32_e32 v9, v18, v19
	v_mov_b32_e32 v10, v4
	v_fmac_f32_e32 v10, 0xbf5db3d7, v9
	v_fmac_f32_e32 v4, 0x3f5db3d7, v9
	v_add_f32_e32 v3, v3, v20
	v_mad_u32_u24 v9, v16, s4, 0
	v_lshlrev_b32_sdwa v13, v26, v17 dst_sel:DWORD dst_unused:UNUSED_PAD src0_sel:DWORD src1_sel:BYTE_0
	v_add_f32_e32 v3, v3, v21
	v_add3_u32 v9, v9, v13, v50
	ds_write2_b32 v9, v3, v4 offset1:17
	ds_write_b32 v9, v10 offset:136
.LBB0_22:
	s_or_b64 exec, exec, s[2:3]
	v_add_f32_e32 v3, v15, v25
	v_add_f32_e32 v26, v3, v27
	;; [unrolled: 1-line block ×3, first 2 shown]
	v_fmac_f32_e32 v15, -0.5, v3
	v_sub_f32_e32 v3, v28, v30
	v_mov_b32_e32 v25, v15
	v_fmac_f32_e32 v25, 0xbf5db3d7, v3
	v_fmac_f32_e32 v15, 0x3f5db3d7, v3
	v_add_f32_e32 v3, v5, v23
	v_add_f32_e32 v27, v3, v24
	;; [unrolled: 1-line block ×3, first 2 shown]
	v_fma_f32 v23, -0.5, v3, v5
	v_sub_f32_e32 v3, v11, v12
	v_mov_b32_e32 v24, v23
	v_fmac_f32_e32 v24, 0xbf5db3d7, v3
	v_fmac_f32_e32 v23, 0x3f5db3d7, v3
	v_add_f32_e32 v3, v6, v14
	v_add_f32_e32 v28, v3, v22
	;; [unrolled: 1-line block ×3, first 2 shown]
	v_fmac_f32_e32 v6, -0.5, v3
	v_sub_f32_e32 v3, v8, v7
	v_mov_b32_e32 v22, v6
	v_fmac_f32_e32 v22, 0xbf5db3d7, v3
	v_fmac_f32_e32 v6, 0x3f5db3d7, v3
	s_waitcnt lgkmcnt(0)
	s_barrier
	ds_read_b32 v5, v53
	ds_read2_b32 v[11:12], v52 offset0:51 offset1:102
	ds_read2_b32 v[7:8], v52 offset0:153 offset1:204
	v_add_u32_e32 v3, 0x200, v52
	v_add_u32_e32 v13, 0x400, v52
	ds_read2_b32 v[3:4], v3 offset0:127 offset1:178
	ds_read2_b32 v[9:10], v13 offset0:101 offset1:152
	;; [unrolled: 1-line block ×3, first 2 shown]
	s_waitcnt lgkmcnt(0)
	s_barrier
	ds_write2_b32 v29, v26, v25 offset1:17
	ds_write_b32 v29, v15 offset:136
	ds_write2_b32 v31, v27, v24 offset1:17
	ds_write_b32 v31, v23 offset:136
	;; [unrolled: 2-line block ×3, first 2 shown]
	s_and_saveexec_b64 s[2:3], s[0:1]
	s_cbranch_execz .LBB0_24
; %bb.23:
	v_add_f32_e32 v15, v18, v19
	v_add_f32_e32 v6, v41, v18
	v_fmac_f32_e32 v41, -0.5, v15
	v_sub_f32_e32 v15, v20, v21
	v_mov_b32_e32 v18, v41
	s_movk_i32 s0, 0xcc
	v_fmac_f32_e32 v18, 0xbf5db3d7, v15
	v_fmac_f32_e32 v41, 0x3f5db3d7, v15
	v_mad_u32_u24 v15, v16, s0, 0
	v_mov_b32_e32 v16, 2
	v_lshlrev_b32_sdwa v16, v16, v17 dst_sel:DWORD dst_unused:UNUSED_PAD src0_sel:DWORD src1_sel:BYTE_0
	v_add_f32_e32 v6, v6, v19
	v_add3_u32 v15, v15, v16, v50
	ds_write2_b32 v15, v6, v18 offset1:17
	ds_write_b32 v15, v41 offset:136
.LBB0_24:
	s_or_b64 exec, exec, s[2:3]
	s_waitcnt lgkmcnt(0)
	s_barrier
	s_and_saveexec_b64 s[0:1], vcc
	s_cbranch_execz .LBB0_26
; %bb.25:
	v_mul_u32_u24_e32 v6, 10, v49
	v_lshlrev_b32_e32 v6, 3, v6
	global_load_dwordx4 v[15:18], v6, s[8:9] offset:336
	global_load_dwordx4 v[19:22], v6, s[8:9] offset:272
	;; [unrolled: 1-line block ×5, first 2 shown]
	v_add_u32_e32 v6, 0x400, v52
	ds_read2_b32 v[35:36], v52 offset0:51 offset1:102
	ds_read2_b32 v[37:38], v52 offset0:153 offset1:204
	v_add_u32_e32 v43, 0x200, v52
	ds_read_b32 v45, v53
	ds_read2_b32 v[39:40], v6 offset0:203 offset1:254
	ds_read2_b32 v[41:42], v6 offset0:101 offset1:152
	ds_read2_b32 v[43:44], v43 offset0:127 offset1:178
	s_mov_b32 s0, 0xbe11bafb
	s_mov_b32 s1, 0xbf75a155
	;; [unrolled: 1-line block ×5, first 2 shown]
	v_lshlrev_b64 v[1:2], 3, v[1:2]
	s_waitcnt vmcnt(4)
	v_mul_f32_e32 v46, v14, v18
	s_waitcnt vmcnt(3)
	v_mul_f32_e32 v47, v11, v20
	s_waitcnt lgkmcnt(5)
	v_mul_f32_e32 v6, v35, v20
	v_mul_f32_e32 v20, v13, v16
	;; [unrolled: 1-line block ×3, first 2 shown]
	s_waitcnt vmcnt(2)
	v_mul_f32_e32 v49, v10, v26
	s_waitcnt lgkmcnt(1)
	v_mul_f32_e32 v26, v42, v26
	s_waitcnt vmcnt(1)
	v_mul_f32_e32 v52, v8, v30
	v_mul_f32_e32 v30, v38, v30
	v_fmac_f32_e32 v46, v40, v17
	v_fmac_f32_e32 v47, v35, v19
	v_mul_f32_e32 v18, v40, v18
	v_mul_f32_e32 v50, v7, v28
	v_fmac_f32_e32 v20, v39, v15
	v_fmac_f32_e32 v48, v36, v21
	;; [unrolled: 1-line block ×3, first 2 shown]
	v_fma_f32 v25, v10, v25, -v26
	v_fmac_f32_e32 v52, v38, v29
	v_fma_f32 v26, v8, v29, -v30
	v_add_f32_e32 v29, v46, v47
	v_mul_f32_e32 v22, v36, v22
	v_mul_f32_e32 v16, v39, v16
	;; [unrolled: 1-line block ×4, first 2 shown]
	s_waitcnt vmcnt(0)
	v_mul_f32_e32 v54, v3, v32
	s_waitcnt lgkmcnt(0)
	v_mul_f32_e32 v32, v43, v32
	v_fma_f32 v35, v11, v19, -v6
	v_fma_f32 v40, v14, v17, -v18
	v_fmac_f32_e32 v50, v37, v27
	v_add_f32_e32 v30, v20, v48
	v_mul_f32_e32 v14, 0xbe11bafb, v29
	v_mul_f32_e32 v28, v37, v28
	;; [unrolled: 1-line block ×4, first 2 shown]
	v_fma_f32 v22, v12, v21, -v22
	v_fma_f32 v36, v13, v15, -v16
	v_fmac_f32_e32 v51, v41, v23
	v_fma_f32 v23, v9, v23, -v24
	v_fmac_f32_e32 v54, v43, v31
	v_fma_f32 v24, v3, v31, -v32
	v_sub_f32_e32 v18, v35, v40
	v_add_f32_e32 v31, v49, v50
	v_mul_f32_e32 v15, 0xbf75a155, v30
	v_mov_b32_e32 v3, v14
	v_fma_f32 v27, v7, v27, -v28
	v_fmac_f32_e32 v53, v44, v33
	v_fma_f32 v28, v4, v33, -v34
	v_sub_f32_e32 v19, v22, v36
	v_add_f32_e32 v32, v51, v52
	v_mul_f32_e32 v16, 0x3ed4b147, v31
	v_mov_b32_e32 v4, v15
	v_fmac_f32_e32 v3, 0x3f7d64f0, v18
	v_sub_f32_e32 v21, v27, v25
	v_add_f32_e32 v34, v53, v54
	v_mul_f32_e32 v17, 0x3f575c64, v32
	v_mov_b32_e32 v6, v16
	v_fmac_f32_e32 v4, 0xbe903f40, v19
	v_add_f32_e32 v3, v45, v3
	v_sub_f32_e32 v33, v26, v23
	v_mul_f32_e32 v41, 0xbf27a4f4, v34
	v_mov_b32_e32 v7, v17
	v_fmac_f32_e32 v6, 0xbf68dda4, v21
	v_add_f32_e32 v3, v3, v4
	v_sub_f32_e32 v37, v24, v28
	v_sub_f32_e32 v39, v47, v46
	v_mov_b32_e32 v8, v41
	v_fmac_f32_e32 v7, 0x3f0a6770, v33
	v_add_f32_e32 v3, v3, v6
	v_mul_f32_e32 v42, 0xbf7d64f0, v39
	v_fmac_f32_e32 v8, 0x3f4178ce, v37
	v_add_f32_e32 v3, v3, v7
	v_sub_f32_e32 v44, v48, v20
	v_add_f32_e32 v38, v40, v35
	v_add_f32_e32 v4, v3, v8
	v_mov_b32_e32 v3, v42
	v_mul_f32_e32 v55, 0x3e903f40, v44
	v_fmac_f32_e32 v3, 0xbe11bafb, v38
	v_add_f32_e32 v43, v36, v22
	v_mov_b32_e32 v6, v55
	v_sub_f32_e32 v57, v50, v49
	v_add_f32_e32 v3, v5, v3
	v_fmac_f32_e32 v6, 0xbf75a155, v43
	v_mul_f32_e32 v58, 0x3f68dda4, v57
	v_add_f32_e32 v3, v3, v6
	v_add_f32_e32 v56, v25, v27
	v_mov_b32_e32 v6, v58
	v_sub_f32_e32 v60, v52, v51
	v_fmac_f32_e32 v6, 0x3ed4b147, v56
	v_mul_f32_e32 v61, 0xbf0a6770, v60
	v_add_f32_e32 v3, v3, v6
	v_add_f32_e32 v59, v23, v26
	v_mov_b32_e32 v6, v61
	v_sub_f32_e32 v63, v54, v53
	v_fmac_f32_e32 v14, 0xbf7d64f0, v18
	v_fmac_f32_e32 v6, 0x3f575c64, v59
	v_mul_f32_e32 v64, 0xbf4178ce, v63
	v_add_f32_e32 v14, v45, v14
	v_fmac_f32_e32 v15, 0x3e903f40, v19
	v_add_f32_e32 v3, v3, v6
	v_add_f32_e32 v62, v28, v24
	v_mov_b32_e32 v6, v64
	v_add_f32_e32 v14, v14, v15
	v_fmac_f32_e32 v16, 0x3f68dda4, v21
	v_fmac_f32_e32 v6, 0xbf27a4f4, v62
	v_mul_f32_e32 v12, 0xbf27a4f4, v29
	v_add_f32_e32 v14, v14, v16
	v_fmac_f32_e32 v17, 0xbf0a6770, v33
	v_add_f32_e32 v3, v3, v6
	v_mov_b32_e32 v6, v12
	v_mul_f32_e32 v13, 0xbe11bafb, v30
	v_add_f32_e32 v14, v14, v17
	v_fmac_f32_e32 v41, 0xbf4178ce, v37
	v_fmac_f32_e32 v6, 0x3f4178ce, v18
	v_mov_b32_e32 v7, v13
	v_add_f32_e32 v15, v14, v41
	v_fma_f32 v14, v38, s0, -v42
	v_add_f32_e32 v6, v45, v6
	v_fmac_f32_e32 v7, 0xbf7d64f0, v19
	v_mul_f32_e32 v65, 0x3f575c64, v31
	v_add_f32_e32 v14, v5, v14
	v_fma_f32 v16, v43, s1, -v55
	v_add_f32_e32 v6, v6, v7
	v_mov_b32_e32 v7, v65
	v_add_f32_e32 v14, v14, v16
	v_fma_f32 v16, v56, s2, -v58
	v_fmac_f32_e32 v7, 0x3f0a6770, v21
	v_mul_f32_e32 v66, 0xbf75a155, v32
	v_add_f32_e32 v14, v14, v16
	v_fma_f32 v16, v59, s3, -v61
	v_add_f32_e32 v6, v6, v7
	v_mov_b32_e32 v7, v66
	v_fmac_f32_e32 v12, 0xbf4178ce, v18
	v_add_f32_e32 v14, v14, v16
	v_fma_f32 v16, v62, s4, -v64
	v_mul_f32_e32 v41, 0xbf68dda4, v18
	v_fmac_f32_e32 v7, 0x3e903f40, v33
	v_mul_f32_e32 v67, 0x3ed4b147, v34
	v_add_f32_e32 v12, v45, v12
	v_fmac_f32_e32 v13, 0x3f7d64f0, v19
	v_add_f32_e32 v14, v14, v16
	v_mov_b32_e32 v16, v41
	v_mul_f32_e32 v42, 0xbf4178ce, v19
	v_add_f32_e32 v6, v6, v7
	v_mov_b32_e32 v7, v67
	v_add_f32_e32 v12, v12, v13
	v_fmac_f32_e32 v65, 0xbf0a6770, v21
	v_fmac_f32_e32 v16, 0x3ed4b147, v29
	v_mov_b32_e32 v17, v42
	v_fmac_f32_e32 v7, 0xbf68dda4, v37
	v_mul_f32_e32 v68, 0xbf4178ce, v39
	v_add_f32_e32 v12, v12, v65
	v_fmac_f32_e32 v66, 0xbe903f40, v33
	v_add_f32_e32 v16, v45, v16
	v_fmac_f32_e32 v17, 0xbf27a4f4, v30
	v_mul_f32_e32 v55, 0x3e903f40, v21
	v_add_f32_e32 v7, v6, v7
	v_mov_b32_e32 v6, v68
	v_mul_f32_e32 v69, 0x3f7d64f0, v44
	v_add_f32_e32 v12, v12, v66
	v_fmac_f32_e32 v67, 0x3f68dda4, v37
	v_add_f32_e32 v16, v16, v17
	v_mov_b32_e32 v17, v55
	v_fmac_f32_e32 v6, 0xbf27a4f4, v38
	v_mov_b32_e32 v8, v69
	v_add_f32_e32 v13, v12, v67
	v_fma_f32 v12, v38, s4, -v68
	v_fmac_f32_e32 v17, 0xbf75a155, v31
	v_mul_f32_e32 v58, 0x3f7d64f0, v33
	v_add_f32_e32 v6, v5, v6
	v_fmac_f32_e32 v8, 0xbe11bafb, v43
	v_mul_f32_e32 v70, 0xbf0a6770, v57
	v_add_f32_e32 v12, v5, v12
	v_fma_f32 v65, v43, s0, -v69
	v_add_f32_e32 v16, v16, v17
	v_mov_b32_e32 v17, v58
	v_add_f32_e32 v6, v6, v8
	v_mov_b32_e32 v8, v70
	v_mul_f32_e32 v71, 0xbe903f40, v60
	v_add_f32_e32 v12, v12, v65
	v_fma_f32 v65, v56, s3, -v70
	v_fmac_f32_e32 v17, 0xbe11bafb, v32
	v_mul_f32_e32 v61, 0x3f0a6770, v37
	v_fmac_f32_e32 v8, 0x3f575c64, v56
	v_mul_f32_e32 v72, 0x3f68dda4, v63
	v_add_f32_e32 v12, v12, v65
	v_fma_f32 v65, v59, s1, -v71
	v_add_f32_e32 v16, v16, v17
	v_mov_b32_e32 v17, v61
	v_add_f32_e32 v6, v6, v8
	v_mov_b32_e32 v8, v71
	v_add_f32_e32 v12, v12, v65
	v_fma_f32 v65, v62, s2, -v72
	v_fmac_f32_e32 v17, 0x3f575c64, v34
	v_mul_f32_e32 v64, 0xbf68dda4, v39
	v_fmac_f32_e32 v8, 0xbf75a155, v59
	v_add_f32_e32 v12, v12, v65
	v_add_f32_e32 v17, v16, v17
	v_fma_f32 v16, v38, s2, -v64
	v_mul_f32_e32 v65, 0xbf4178ce, v44
	v_add_f32_e32 v6, v6, v8
	v_mov_b32_e32 v8, v72
	v_add_f32_e32 v16, v5, v16
	v_fma_f32 v66, v43, s4, -v65
	v_fmac_f32_e32 v8, 0x3ed4b147, v62
	v_mul_f32_e32 v10, 0xbf75a155, v29
	v_add_f32_e32 v16, v16, v66
	v_mul_f32_e32 v66, 0x3e903f40, v57
	v_add_f32_e32 v6, v6, v8
	v_mov_b32_e32 v8, v10
	v_mul_f32_e32 v11, 0x3f575c64, v30
	v_fma_f32 v67, v56, s1, -v66
	v_fmac_f32_e32 v8, 0x3e903f40, v18
	v_mov_b32_e32 v9, v11
	v_add_f32_e32 v16, v16, v67
	v_mul_f32_e32 v67, 0x3f7d64f0, v60
	v_add_f32_e32 v8, v45, v8
	v_fmac_f32_e32 v9, 0xbf0a6770, v19
	v_mul_f32_e32 v73, 0xbf27a4f4, v31
	v_fma_f32 v68, v59, s0, -v67
	v_add_f32_e32 v8, v8, v9
	v_mov_b32_e32 v9, v73
	v_add_f32_e32 v16, v16, v68
	v_mul_f32_e32 v68, 0x3f0a6770, v63
	v_fmac_f32_e32 v9, 0x3f4178ce, v21
	v_mul_f32_e32 v74, 0x3ed4b147, v32
	v_fma_f32 v69, v62, s3, -v68
	v_add_f32_e32 v8, v8, v9
	v_mov_b32_e32 v9, v74
	v_add_f32_e32 v16, v16, v69
	v_mul_f32_e32 v69, 0xbf0a6770, v18
	v_fmac_f32_e32 v9, 0xbf68dda4, v33
	v_mul_f32_e32 v75, 0xbe11bafb, v34
	v_fmac_f32_e32 v10, 0xbe903f40, v18
	v_mov_b32_e32 v18, v69
	v_mul_f32_e32 v70, 0xbf68dda4, v19
	v_add_f32_e32 v8, v8, v9
	v_mov_b32_e32 v9, v75
	v_fmac_f32_e32 v11, 0x3f0a6770, v19
	v_fmac_f32_e32 v18, 0x3f575c64, v29
	v_mov_b32_e32 v19, v70
	v_fmac_f32_e32 v9, 0x3f7d64f0, v37
	v_mul_f32_e32 v76, 0xbe903f40, v39
	v_add_f32_e32 v18, v45, v18
	v_fmac_f32_e32 v19, 0x3ed4b147, v30
	v_mul_f32_e32 v71, 0xbf7d64f0, v21
	v_add_f32_e32 v9, v8, v9
	v_mov_b32_e32 v8, v76
	v_mul_f32_e32 v77, 0x3f0a6770, v44
	v_add_f32_e32 v18, v18, v19
	v_mov_b32_e32 v19, v71
	v_fmac_f32_e32 v8, 0xbf75a155, v38
	v_mov_b32_e32 v78, v77
	v_fmac_f32_e32 v74, 0x3f68dda4, v33
	v_fmac_f32_e32 v19, 0xbe11bafb, v31
	v_mul_f32_e32 v33, 0xbf4178ce, v33
	v_add_f32_e32 v8, v5, v8
	v_fmac_f32_e32 v78, 0x3f575c64, v43
	v_add_f32_e32 v18, v18, v19
	v_mov_b32_e32 v19, v33
	v_add_f32_e32 v8, v8, v78
	v_mul_f32_e32 v78, 0xbf4178ce, v57
	v_fmac_f32_e32 v75, 0xbf7d64f0, v37
	v_fmac_f32_e32 v19, 0xbf27a4f4, v32
	v_mul_f32_e32 v37, 0xbe903f40, v37
	v_mov_b32_e32 v79, v78
	v_add_f32_e32 v18, v18, v19
	v_mov_b32_e32 v19, v37
	v_fmac_f32_e32 v79, 0xbf27a4f4, v56
	v_fmac_f32_e32 v19, 0xbf75a155, v34
	v_mul_f32_e32 v39, 0xbf0a6770, v39
	v_add_f32_e32 v8, v8, v79
	v_mul_f32_e32 v79, 0x3f68dda4, v60
	v_add_f32_e32 v19, v18, v19
	v_fma_f32 v18, v38, s3, -v39
	v_mul_f32_e32 v44, 0xbf68dda4, v44
	v_mov_b32_e32 v80, v79
	v_fmac_f32_e32 v73, 0xbf4178ce, v21
	v_add_f32_e32 v18, v5, v18
	v_fma_f32 v21, v43, s2, -v44
	v_mul_f32_e32 v57, 0xbf7d64f0, v57
	v_fmac_f32_e32 v80, 0x3ed4b147, v59
	v_add_f32_e32 v18, v18, v21
	v_fma_f32 v21, v56, s0, -v57
	v_mul_f32_e32 v60, 0xbf4178ce, v60
	v_add_f32_e32 v8, v8, v80
	v_mul_f32_e32 v80, 0xbf7d64f0, v63
	v_add_f32_e32 v18, v18, v21
	v_fma_f32 v21, v59, s4, -v60
	v_mul_f32_e32 v63, 0xbe903f40, v63
	v_add_f32_e32 v18, v18, v21
	v_fma_f32 v21, v62, s1, -v63
	v_add_f32_e32 v18, v18, v21
	v_add_f32_e32 v21, v45, v47
	;; [unrolled: 1-line block ×22, first 2 shown]
	v_fma_f32 v10, v38, s1, -v76
	v_add_f32_e32 v20, v23, v20
	v_fma_f32 v24, v29, s3, -v69
	v_add_f32_e32 v10, v5, v10
	;; [unrolled: 2-line block ×13, first 2 shown]
	v_fma_f32 v25, v34, s1, -v37
	v_mad_u64_u32 v[26:27], s[0:1], s12, v0, 0
	v_add_f32_e32 v22, v22, v23
	v_fma_f32 v23, v34, s3, -v61
	v_fmac_f32_e32 v64, 0x3ed4b147, v38
	v_fmac_f32_e32 v39, 0x3f575c64, v38
	v_add_f32_e32 v23, v22, v23
	v_add_f32_e32 v22, v5, v64
	;; [unrolled: 1-line block ×3, first 2 shown]
	v_fmac_f32_e32 v44, 0x3ed4b147, v43
	v_add_f32_e32 v5, v5, v44
	v_fmac_f32_e32 v57, 0xbe11bafb, v56
	v_add_f32_e32 v25, v24, v25
	v_add_f32_e32 v24, v5, v57
	v_mov_b32_e32 v5, v27
	v_mad_u64_u32 v[27:28], s[0:1], s13, v0, v[5:6]
	v_fmac_f32_e32 v60, 0xbf27a4f4, v59
	v_add_f32_e32 v5, v24, v60
	v_fmac_f32_e32 v63, 0xbf75a155, v62
	v_add_f32_e32 v24, v5, v63
	v_mov_b32_e32 v5, s15
	v_add_co_u32_e32 v30, vcc, s14, v1
	v_add_u32_e32 v28, 51, v0
	v_addc_co_u32_e32 v31, vcc, v5, v2, vcc
	v_lshlrev_b64 v[1:2], 3, v[26:27]
	v_mad_u64_u32 v[26:27], s[0:1], s12, v28, 0
	v_add_u32_e32 v32, 0x66, v0
	v_add_f32_e32 v20, v36, v20
	v_mov_b32_e32 v5, v27
	v_mad_u64_u32 v[27:28], s[0:1], s13, v28, v[5:6]
	v_mad_u64_u32 v[28:29], s[0:1], s12, v32, 0
	v_add_co_u32_e32 v1, vcc, v30, v1
	v_add_f32_e32 v20, v40, v20
	v_addc_co_u32_e32 v2, vcc, v31, v2, vcc
	v_mov_b32_e32 v5, v29
	global_store_dwordx2 v[1:2], v[20:21], off
	v_mad_u64_u32 v[20:21], s[0:1], s13, v32, v[5:6]
	v_lshlrev_b64 v[1:2], 3, v[26:27]
	v_add_u32_e32 v26, 0xcc, v0
	v_add_co_u32_e32 v1, vcc, v30, v1
	v_addc_co_u32_e32 v2, vcc, v31, v2, vcc
	v_mov_b32_e32 v29, v20
	v_add_u32_e32 v20, 0x99, v0
	global_store_dwordx2 v[1:2], v[18:19], off
	v_mad_u64_u32 v[18:19], s[0:1], s12, v20, 0
	v_lshlrev_b64 v[1:2], 3, v[28:29]
	v_add_f32_e32 v10, v10, v73
	v_mov_b32_e32 v5, v19
	v_mad_u64_u32 v[19:20], s[0:1], s13, v20, v[5:6]
	v_mad_u64_u32 v[20:21], s[0:1], s12, v26, 0
	v_add_co_u32_e32 v1, vcc, v30, v1
	v_addc_co_u32_e32 v2, vcc, v31, v2, vcc
	v_mov_b32_e32 v5, v21
	global_store_dwordx2 v[1:2], v[16:17], off
	v_mad_u64_u32 v[16:17], s[0:1], s13, v26, v[5:6]
	v_lshlrev_b64 v[1:2], 3, v[18:19]
	v_add_u32_e32 v18, 0x132, v0
	v_add_co_u32_e32 v1, vcc, v30, v1
	v_addc_co_u32_e32 v2, vcc, v31, v2, vcc
	v_mov_b32_e32 v21, v16
	v_add_u32_e32 v16, 0xff, v0
	global_store_dwordx2 v[1:2], v[14:15], off
	v_mad_u64_u32 v[14:15], s[0:1], s12, v16, 0
	v_lshlrev_b64 v[1:2], 3, v[20:21]
	v_mov_b32_e32 v81, v80
	v_mov_b32_e32 v5, v15
	v_mad_u64_u32 v[15:16], s[0:1], s13, v16, v[5:6]
	v_mad_u64_u32 v[16:17], s[0:1], s12, v18, 0
	v_add_co_u32_e32 v1, vcc, v30, v1
	v_addc_co_u32_e32 v2, vcc, v31, v2, vcc
	v_mov_b32_e32 v5, v17
	global_store_dwordx2 v[1:2], v[12:13], off
	v_mad_u64_u32 v[12:13], s[0:1], s13, v18, v[5:6]
	v_lshlrev_b64 v[1:2], 3, v[14:15]
	v_fmac_f32_e32 v81, 0xbe11bafb, v62
	v_add_co_u32_e32 v1, vcc, v30, v1
	v_addc_co_u32_e32 v2, vcc, v31, v2, vcc
	v_mov_b32_e32 v17, v12
	v_add_u32_e32 v12, 0x165, v0
	global_store_dwordx2 v[1:2], v[10:11], off
	v_mad_u64_u32 v[10:11], s[0:1], s12, v12, 0
	v_lshlrev_b64 v[1:2], 3, v[16:17]
	v_add_f32_e32 v8, v8, v81
	v_mov_b32_e32 v5, v11
	v_mad_u64_u32 v[11:12], s[0:1], s13, v12, v[5:6]
	v_add_co_u32_e32 v1, vcc, v30, v1
	v_addc_co_u32_e32 v2, vcc, v31, v2, vcc
	v_add_u32_e32 v14, 0x198, v0
	v_mad_u64_u32 v[12:13], s[0:1], s12, v14, 0
	global_store_dwordx2 v[1:2], v[8:9], off
	v_lshlrev_b64 v[1:2], 3, v[10:11]
	v_mov_b32_e32 v5, v13
	v_add_co_u32_e32 v1, vcc, v30, v1
	v_addc_co_u32_e32 v2, vcc, v31, v2, vcc
	global_store_dwordx2 v[1:2], v[6:7], off
	v_add_u32_e32 v7, 0x1cb, v0
	v_mad_u64_u32 v[8:9], s[0:1], s13, v14, v[5:6]
	v_mad_u64_u32 v[5:6], s[0:1], s12, v7, 0
	v_mov_b32_e32 v13, v8
	v_add_u32_e32 v9, 0x1fe, v0
	v_mad_u64_u32 v[6:7], s[0:1], s13, v7, v[6:7]
	v_lshlrev_b64 v[1:2], 3, v[12:13]
	v_mad_u64_u32 v[7:8], s[0:1], s12, v9, 0
	v_add_co_u32_e32 v1, vcc, v30, v1
	v_addc_co_u32_e32 v2, vcc, v31, v2, vcc
	global_store_dwordx2 v[1:2], v[3:4], off
	v_mov_b32_e32 v2, v8
	v_fmac_f32_e32 v65, 0xbf27a4f4, v43
	v_mad_u64_u32 v[2:3], s[0:1], s13, v9, v[2:3]
	v_add_f32_e32 v22, v22, v65
	v_fmac_f32_e32 v66, 0xbf75a155, v56
	v_lshlrev_b64 v[0:1], 3, v[5:6]
	v_add_f32_e32 v22, v22, v66
	v_fmac_f32_e32 v67, 0xbe11bafb, v59
	v_add_f32_e32 v22, v22, v67
	v_fmac_f32_e32 v68, 0x3f575c64, v62
	v_add_co_u32_e32 v0, vcc, v30, v0
	v_add_f32_e32 v22, v22, v68
	v_addc_co_u32_e32 v1, vcc, v31, v1, vcc
	v_mov_b32_e32 v8, v2
	global_store_dwordx2 v[0:1], v[22:23], off
	v_lshlrev_b64 v[0:1], 3, v[7:8]
	v_add_co_u32_e32 v0, vcc, v30, v0
	v_addc_co_u32_e32 v1, vcc, v31, v1, vcc
	global_store_dwordx2 v[0:1], v[24:25], off
.LBB0_26:
	s_endpgm
	.section	.rodata,"a",@progbits
	.p2align	6, 0x0
	.amdhsa_kernel fft_rtc_fwd_len561_factors_17_3_11_wgs_255_tpt_51_halfLds_sp_ip_CI_sbrr_dirReg
		.amdhsa_group_segment_fixed_size 0
		.amdhsa_private_segment_fixed_size 0
		.amdhsa_kernarg_size 88
		.amdhsa_user_sgpr_count 6
		.amdhsa_user_sgpr_private_segment_buffer 1
		.amdhsa_user_sgpr_dispatch_ptr 0
		.amdhsa_user_sgpr_queue_ptr 0
		.amdhsa_user_sgpr_kernarg_segment_ptr 1
		.amdhsa_user_sgpr_dispatch_id 0
		.amdhsa_user_sgpr_flat_scratch_init 0
		.amdhsa_user_sgpr_private_segment_size 0
		.amdhsa_uses_dynamic_stack 0
		.amdhsa_system_sgpr_private_segment_wavefront_offset 0
		.amdhsa_system_sgpr_workgroup_id_x 1
		.amdhsa_system_sgpr_workgroup_id_y 0
		.amdhsa_system_sgpr_workgroup_id_z 0
		.amdhsa_system_sgpr_workgroup_info 0
		.amdhsa_system_vgpr_workitem_id 0
		.amdhsa_next_free_vgpr 90
		.amdhsa_next_free_sgpr 24
		.amdhsa_reserve_vcc 1
		.amdhsa_reserve_flat_scratch 0
		.amdhsa_float_round_mode_32 0
		.amdhsa_float_round_mode_16_64 0
		.amdhsa_float_denorm_mode_32 3
		.amdhsa_float_denorm_mode_16_64 3
		.amdhsa_dx10_clamp 1
		.amdhsa_ieee_mode 1
		.amdhsa_fp16_overflow 0
		.amdhsa_exception_fp_ieee_invalid_op 0
		.amdhsa_exception_fp_denorm_src 0
		.amdhsa_exception_fp_ieee_div_zero 0
		.amdhsa_exception_fp_ieee_overflow 0
		.amdhsa_exception_fp_ieee_underflow 0
		.amdhsa_exception_fp_ieee_inexact 0
		.amdhsa_exception_int_div_zero 0
	.end_amdhsa_kernel
	.text
.Lfunc_end0:
	.size	fft_rtc_fwd_len561_factors_17_3_11_wgs_255_tpt_51_halfLds_sp_ip_CI_sbrr_dirReg, .Lfunc_end0-fft_rtc_fwd_len561_factors_17_3_11_wgs_255_tpt_51_halfLds_sp_ip_CI_sbrr_dirReg
                                        ; -- End function
	.section	.AMDGPU.csdata,"",@progbits
; Kernel info:
; codeLenInByte = 11636
; NumSgprs: 28
; NumVgprs: 90
; ScratchSize: 0
; MemoryBound: 0
; FloatMode: 240
; IeeeMode: 1
; LDSByteSize: 0 bytes/workgroup (compile time only)
; SGPRBlocks: 3
; VGPRBlocks: 22
; NumSGPRsForWavesPerEU: 28
; NumVGPRsForWavesPerEU: 90
; Occupancy: 2
; WaveLimiterHint : 1
; COMPUTE_PGM_RSRC2:SCRATCH_EN: 0
; COMPUTE_PGM_RSRC2:USER_SGPR: 6
; COMPUTE_PGM_RSRC2:TRAP_HANDLER: 0
; COMPUTE_PGM_RSRC2:TGID_X_EN: 1
; COMPUTE_PGM_RSRC2:TGID_Y_EN: 0
; COMPUTE_PGM_RSRC2:TGID_Z_EN: 0
; COMPUTE_PGM_RSRC2:TIDIG_COMP_CNT: 0
	.type	__hip_cuid_3840449d1d1dade4,@object ; @__hip_cuid_3840449d1d1dade4
	.section	.bss,"aw",@nobits
	.globl	__hip_cuid_3840449d1d1dade4
__hip_cuid_3840449d1d1dade4:
	.byte	0                               ; 0x0
	.size	__hip_cuid_3840449d1d1dade4, 1

	.ident	"AMD clang version 19.0.0git (https://github.com/RadeonOpenCompute/llvm-project roc-6.4.0 25133 c7fe45cf4b819c5991fe208aaa96edf142730f1d)"
	.section	".note.GNU-stack","",@progbits
	.addrsig
	.addrsig_sym __hip_cuid_3840449d1d1dade4
	.amdgpu_metadata
---
amdhsa.kernels:
  - .args:
      - .actual_access:  read_only
        .address_space:  global
        .offset:         0
        .size:           8
        .value_kind:     global_buffer
      - .offset:         8
        .size:           8
        .value_kind:     by_value
      - .actual_access:  read_only
        .address_space:  global
        .offset:         16
        .size:           8
        .value_kind:     global_buffer
      - .actual_access:  read_only
        .address_space:  global
        .offset:         24
        .size:           8
        .value_kind:     global_buffer
      - .offset:         32
        .size:           8
        .value_kind:     by_value
      - .actual_access:  read_only
        .address_space:  global
        .offset:         40
        .size:           8
        .value_kind:     global_buffer
      - .actual_access:  read_only
        .address_space:  global
        .offset:         48
        .size:           8
        .value_kind:     global_buffer
      - .offset:         56
        .size:           4
        .value_kind:     by_value
      - .actual_access:  read_only
        .address_space:  global
        .offset:         64
        .size:           8
        .value_kind:     global_buffer
      - .actual_access:  read_only
        .address_space:  global
        .offset:         72
        .size:           8
        .value_kind:     global_buffer
      - .address_space:  global
        .offset:         80
        .size:           8
        .value_kind:     global_buffer
    .group_segment_fixed_size: 0
    .kernarg_segment_align: 8
    .kernarg_segment_size: 88
    .language:       OpenCL C
    .language_version:
      - 2
      - 0
    .max_flat_workgroup_size: 255
    .name:           fft_rtc_fwd_len561_factors_17_3_11_wgs_255_tpt_51_halfLds_sp_ip_CI_sbrr_dirReg
    .private_segment_fixed_size: 0
    .sgpr_count:     28
    .sgpr_spill_count: 0
    .symbol:         fft_rtc_fwd_len561_factors_17_3_11_wgs_255_tpt_51_halfLds_sp_ip_CI_sbrr_dirReg.kd
    .uniform_work_group_size: 1
    .uses_dynamic_stack: false
    .vgpr_count:     90
    .vgpr_spill_count: 0
    .wavefront_size: 64
amdhsa.target:   amdgcn-amd-amdhsa--gfx906
amdhsa.version:
  - 1
  - 2
...

	.end_amdgpu_metadata
